;; amdgpu-corpus repo=ROCm/vllm kind=compiled arch=gfx1100 opt=O3
	.text
	.amdgcn_target "amdgcn-amd-amdhsa--gfx1100"
	.amdhsa_code_object_version 6
	.section	.text._ZN4vllm23rotary_embedding_kernelIfLb1EEEvPKlPT_S4_PKS3_illliii,"axG",@progbits,_ZN4vllm23rotary_embedding_kernelIfLb1EEEvPKlPT_S4_PKS3_illliii,comdat
	.protected	_ZN4vllm23rotary_embedding_kernelIfLb1EEEvPKlPT_S4_PKS3_illliii ; -- Begin function _ZN4vllm23rotary_embedding_kernelIfLb1EEEvPKlPT_S4_PKS3_illliii
	.globl	_ZN4vllm23rotary_embedding_kernelIfLb1EEEvPKlPT_S4_PKS3_illliii
	.p2align	8
	.type	_ZN4vllm23rotary_embedding_kernelIfLb1EEEvPKlPT_S4_PKS3_illliii,@function
_ZN4vllm23rotary_embedding_kernelIfLb1EEEvPKlPT_S4_PKS3_illliii: ; @_ZN4vllm23rotary_embedding_kernelIfLb1EEEvPKlPT_S4_PKS3_illliii
; %bb.0:
	s_clause 0x1
	s_load_b32 s20, s[0:1], 0x20
	s_load_b64 s[2:3], s[0:1], 0x0
	s_mov_b32 s16, s15
	s_ashr_i32 s17, s15, 31
	s_load_b128 s[12:15], s[0:1], 0x10
	s_lshl_b64 s[4:5], s[16:17], 3
	s_mov_b32 s21, exec_lo
	s_waitcnt lgkmcnt(0)
	s_ashr_i32 s18, s20, 31
	s_add_u32 s2, s2, s4
	s_addc_u32 s3, s3, s5
	s_load_b64 s[2:3], s[2:3], 0x0
	s_load_b256 s[4:11], s[0:1], 0x28
	s_waitcnt lgkmcnt(0)
	s_mul_i32 s18, s2, s18
	s_mul_hi_u32 s19, s2, s20
	s_mul_i32 s3, s3, s20
	s_add_i32 s18, s19, s18
	s_mul_i32 s2, s2, s20
	s_add_i32 s3, s18, s3
	s_delay_alu instid0(SALU_CYCLE_1) | instskip(NEXT) | instid1(SALU_CYCLE_1)
	s_lshl_b64 s[2:3], s[2:3], 2
	s_add_u32 s18, s14, s2
	s_addc_u32 s19, s15, s3
	s_lshr_b32 s2, s20, 31
	s_delay_alu instid0(SALU_CYCLE_1) | instskip(NEXT) | instid1(SALU_CYCLE_1)
	s_add_i32 s20, s20, s2
	s_ashr_i32 s14, s20, 1
	s_delay_alu instid0(SALU_CYCLE_1) | instskip(SKIP_2) | instid1(SALU_CYCLE_1)
	s_ashr_i32 s15, s14, 31
	s_mul_i32 s20, s14, s10
	s_lshl_b64 s[2:3], s[14:15], 2
	s_add_u32 s10, s18, s2
	s_addc_u32 s15, s19, s3
	v_cmpx_gt_i32_e64 s20, v0
	s_cbranch_execz .LBB0_3
; %bb.1:
	s_load_b64 s[22:23], s[0:1], 0x8
	s_mul_i32 s5, s16, s5
	s_mul_hi_u32 s24, s16, s4
	s_mul_i32 s25, s17, s4
	s_add_i32 s5, s24, s5
	s_load_b32 s24, s[0:1], 0x5c
	s_mul_i32 s4, s16, s4
	s_add_i32 s5, s5, s25
	s_mov_b32 s25, 0
	s_lshl_b64 s[4:5], s[4:5], 2
	s_waitcnt lgkmcnt(0)
	s_add_u32 s4, s22, s4
	s_addc_u32 s5, s23, s5
	s_abs_i32 s22, s14
	s_sub_i32 s26, 0, s14
	v_cvt_f32_u32_e32 v1, s22
	s_sub_i32 s23, 0, s22
	s_delay_alu instid0(VALU_DEP_1) | instskip(SKIP_2) | instid1(VALU_DEP_1)
	v_rcp_iflag_f32_e32 v1, v1
	s_waitcnt_depctr 0xfff
	v_mul_f32_e32 v1, 0x4f7ffffe, v1
	v_cvt_u32_f32_e32 v1, v1
	s_delay_alu instid0(VALU_DEP_1) | instskip(SKIP_2) | instid1(VALU_DEP_1)
	v_mul_lo_u32 v2, s23, v1
	s_and_b32 s23, s24, 0xffff
	s_ashr_i32 s24, s14, 31
	v_mul_hi_u32 v2, v1, v2
	s_delay_alu instid0(VALU_DEP_1)
	v_dual_mov_b32 v1, v0 :: v_dual_add_nc_u32 v2, v1, v2
.LBB0_2:                                ; =>This Inner Loop Header: Depth=1
	s_delay_alu instid0(VALU_DEP_1) | instskip(SKIP_1) | instid1(VALU_DEP_2)
	v_sub_nc_u32_e32 v3, 0, v1
	v_ashrrev_i32_e32 v4, 31, v1
	v_max_i32_e32 v3, v1, v3
	s_delay_alu instid0(VALU_DEP_2) | instskip(NEXT) | instid1(VALU_DEP_2)
	v_xor_b32_e32 v4, s24, v4
	v_mul_hi_u32 v5, v3, v2
	s_delay_alu instid0(VALU_DEP_1) | instskip(SKIP_1) | instid1(VALU_DEP_2)
	v_mul_lo_u32 v6, v5, s22
	v_add_nc_u32_e32 v7, 1, v5
	v_sub_nc_u32_e32 v3, v3, v6
	s_delay_alu instid0(VALU_DEP_1) | instskip(SKIP_1) | instid1(VALU_DEP_4)
	v_subrev_nc_u32_e32 v6, s22, v3
	v_cmp_le_u32_e32 vcc_lo, s22, v3
	v_cndmask_b32_e32 v5, v5, v7, vcc_lo
	s_delay_alu instid0(VALU_DEP_1) | instskip(NEXT) | instid1(VALU_DEP_1)
	v_dual_cndmask_b32 v3, v3, v6 :: v_dual_add_nc_u32 v6, 1, v5
	v_cmp_le_u32_e32 vcc_lo, s22, v3
	s_delay_alu instid0(VALU_DEP_2) | instskip(NEXT) | instid1(VALU_DEP_1)
	v_cndmask_b32_e32 v3, v5, v6, vcc_lo
	v_xor_b32_e32 v3, v3, v4
	s_delay_alu instid0(VALU_DEP_1) | instskip(NEXT) | instid1(VALU_DEP_1)
	v_sub_nc_u32_e32 v7, v3, v4
	v_mad_u64_u32 v[3:4], null, s26, v7, v[1:2]
	v_ashrrev_i32_e32 v8, 31, v7
	v_mul_lo_u32 v9, v7, s9
	v_mad_u64_u32 v[5:6], null, v7, s8, 0
	v_add_nc_u32_e32 v1, s23, v1
	s_delay_alu instid0(VALU_DEP_4) | instskip(SKIP_1) | instid1(VALU_DEP_1)
	v_mul_lo_u32 v7, v8, s8
	v_ashrrev_i32_e32 v4, 31, v3
	v_lshlrev_b64 v[3:4], 2, v[3:4]
	s_delay_alu instid0(VALU_DEP_3) | instskip(NEXT) | instid1(VALU_DEP_2)
	v_add3_u32 v6, v6, v9, v7
	v_add_co_u32 v7, vcc_lo, s18, v3
	s_delay_alu instid0(VALU_DEP_2) | instskip(NEXT) | instid1(VALU_DEP_4)
	v_lshlrev_b64 v[5:6], 2, v[5:6]
	v_add_co_ci_u32_e32 v8, vcc_lo, s19, v4, vcc_lo
	v_add_co_u32 v9, vcc_lo, s10, v3
	v_add_co_ci_u32_e32 v10, vcc_lo, s15, v4, vcc_lo
	s_delay_alu instid0(VALU_DEP_4) | instskip(SKIP_1) | instid1(VALU_DEP_2)
	v_add_co_u32 v5, vcc_lo, s4, v5
	v_add_co_ci_u32_e32 v6, vcc_lo, s5, v6, vcc_lo
	v_add_co_u32 v3, vcc_lo, v5, v3
	s_delay_alu instid0(VALU_DEP_2) | instskip(NEXT) | instid1(VALU_DEP_2)
	v_add_co_ci_u32_e32 v4, vcc_lo, v6, v4, vcc_lo
	v_add_co_u32 v5, vcc_lo, v3, s2
	s_delay_alu instid0(VALU_DEP_2)
	v_add_co_ci_u32_e32 v6, vcc_lo, s3, v4, vcc_lo
	s_clause 0x1
	global_load_b32 v7, v[7:8], off
	global_load_b32 v8, v[9:10], off
	s_clause 0x1
	global_load_b32 v9, v[3:4], off
	global_load_b32 v10, v[5:6], off
	v_cmp_le_i32_e32 vcc_lo, s20, v1
	s_or_b32 s25, vcc_lo, s25
	s_waitcnt vmcnt(0)
	v_mul_f32_e32 v11, v8, v10
	v_mul_f32_e32 v10, v7, v10
	s_delay_alu instid0(VALU_DEP_2) | instskip(NEXT) | instid1(VALU_DEP_2)
	v_fma_f32 v7, v7, v9, -v11
	v_fmac_f32_e32 v10, v8, v9
	s_clause 0x1
	global_store_b32 v[3:4], v7, off
	global_store_b32 v[5:6], v10, off
	s_and_not1_b32 exec_lo, exec_lo, s25
	s_cbranch_execnz .LBB0_2
.LBB0_3:
	s_or_b32 exec_lo, exec_lo, s21
	s_cmp_lg_u64 s[12:13], 0
	s_cbranch_scc0 .LBB0_7
; %bb.4:
	s_mul_i32 s4, s14, s11
	s_mov_b32 s5, exec_lo
	v_cmpx_gt_i32_e64 s4, v0
	s_cbranch_execz .LBB0_7
; %bb.5:
	s_mul_i32 s5, s16, s7
	s_mul_hi_u32 s7, s16, s6
	s_load_b32 s0, s[0:1], 0x5c
	s_add_i32 s5, s7, s5
	s_mul_i32 s7, s17, s6
	s_mul_i32 s6, s16, s6
	s_add_i32 s7, s5, s7
	s_mov_b32 s11, 0
	s_lshl_b64 s[6:7], s[6:7], 2
	s_delay_alu instid0(SALU_CYCLE_1)
	s_add_u32 s5, s12, s6
	s_addc_u32 s6, s13, s7
	s_abs_i32 s7, s14
	s_sub_i32 s12, 0, s14
	v_cvt_f32_u32_e32 v1, s7
	s_sub_i32 s1, 0, s7
	s_delay_alu instid0(VALU_DEP_1) | instskip(SKIP_4) | instid1(VALU_DEP_1)
	v_rcp_iflag_f32_e32 v1, v1
	s_waitcnt lgkmcnt(0)
	s_and_b32 s0, s0, 0xffff
	s_waitcnt_depctr 0xfff
	v_mul_f32_e32 v1, 0x4f7ffffe, v1
	v_cvt_u32_f32_e32 v1, v1
	s_delay_alu instid0(VALU_DEP_1) | instskip(SKIP_1) | instid1(VALU_DEP_1)
	v_mul_lo_u32 v2, s1, v1
	s_ashr_i32 s1, s14, 31
	v_mul_hi_u32 v2, v1, v2
	s_delay_alu instid0(VALU_DEP_1)
	v_add_nc_u32_e32 v1, v1, v2
.LBB0_6:                                ; =>This Inner Loop Header: Depth=1
	v_sub_nc_u32_e32 v2, 0, v0
	v_ashrrev_i32_e32 v3, 31, v0
	s_delay_alu instid0(VALU_DEP_2) | instskip(NEXT) | instid1(VALU_DEP_2)
	v_max_i32_e32 v2, v0, v2
	v_xor_b32_e32 v3, s1, v3
	s_delay_alu instid0(VALU_DEP_2) | instskip(NEXT) | instid1(VALU_DEP_1)
	v_mul_hi_u32 v4, v2, v1
	v_mul_lo_u32 v5, v4, s7
	v_add_nc_u32_e32 v6, 1, v4
	s_delay_alu instid0(VALU_DEP_2) | instskip(NEXT) | instid1(VALU_DEP_1)
	v_sub_nc_u32_e32 v2, v2, v5
	v_subrev_nc_u32_e32 v5, s7, v2
	v_cmp_le_u32_e32 vcc_lo, s7, v2
	s_delay_alu instid0(VALU_DEP_4) | instskip(NEXT) | instid1(VALU_DEP_1)
	v_cndmask_b32_e32 v4, v4, v6, vcc_lo
	v_dual_cndmask_b32 v2, v2, v5 :: v_dual_add_nc_u32 v5, 1, v4
	s_delay_alu instid0(VALU_DEP_1) | instskip(NEXT) | instid1(VALU_DEP_2)
	v_cmp_le_u32_e32 vcc_lo, s7, v2
	v_cndmask_b32_e32 v2, v4, v5, vcc_lo
	s_delay_alu instid0(VALU_DEP_1) | instskip(NEXT) | instid1(VALU_DEP_1)
	v_xor_b32_e32 v2, v2, v3
	v_sub_nc_u32_e32 v6, v2, v3
	s_delay_alu instid0(VALU_DEP_1) | instskip(SKIP_4) | instid1(VALU_DEP_4)
	v_mad_u64_u32 v[2:3], null, s12, v6, v[0:1]
	v_ashrrev_i32_e32 v7, 31, v6
	v_mul_lo_u32 v8, v6, s9
	v_mad_u64_u32 v[4:5], null, v6, s8, 0
	v_add_nc_u32_e32 v0, s0, v0
	v_mul_lo_u32 v6, v7, s8
	v_ashrrev_i32_e32 v3, 31, v2
	s_delay_alu instid0(VALU_DEP_1) | instskip(NEXT) | instid1(VALU_DEP_3)
	v_lshlrev_b64 v[2:3], 2, v[2:3]
	v_add3_u32 v5, v5, v8, v6
	s_delay_alu instid0(VALU_DEP_2) | instskip(NEXT) | instid1(VALU_DEP_2)
	v_add_co_u32 v6, vcc_lo, s18, v2
	v_lshlrev_b64 v[4:5], 2, v[4:5]
	s_delay_alu instid0(VALU_DEP_4) | instskip(SKIP_2) | instid1(VALU_DEP_4)
	v_add_co_ci_u32_e32 v7, vcc_lo, s19, v3, vcc_lo
	v_add_co_u32 v8, vcc_lo, s10, v2
	v_add_co_ci_u32_e32 v9, vcc_lo, s15, v3, vcc_lo
	v_add_co_u32 v4, vcc_lo, s5, v4
	v_add_co_ci_u32_e32 v5, vcc_lo, s6, v5, vcc_lo
	s_delay_alu instid0(VALU_DEP_2) | instskip(NEXT) | instid1(VALU_DEP_2)
	v_add_co_u32 v2, vcc_lo, v4, v2
	v_add_co_ci_u32_e32 v3, vcc_lo, v5, v3, vcc_lo
	s_delay_alu instid0(VALU_DEP_2) | instskip(NEXT) | instid1(VALU_DEP_2)
	v_add_co_u32 v4, vcc_lo, v2, s2
	v_add_co_ci_u32_e32 v5, vcc_lo, s3, v3, vcc_lo
	s_clause 0x1
	global_load_b32 v6, v[6:7], off
	global_load_b32 v7, v[8:9], off
	s_clause 0x1
	global_load_b32 v8, v[2:3], off
	global_load_b32 v9, v[4:5], off
	v_cmp_le_i32_e32 vcc_lo, s4, v0
	s_or_b32 s11, vcc_lo, s11
	s_waitcnt vmcnt(0)
	v_mul_f32_e32 v10, v7, v9
	v_mul_f32_e32 v9, v6, v9
	s_delay_alu instid0(VALU_DEP_2) | instskip(NEXT) | instid1(VALU_DEP_2)
	v_fma_f32 v6, v6, v8, -v10
	v_fmac_f32_e32 v9, v7, v8
	s_clause 0x1
	global_store_b32 v[2:3], v6, off
	global_store_b32 v[4:5], v9, off
	s_and_not1_b32 exec_lo, exec_lo, s11
	s_cbranch_execnz .LBB0_6
.LBB0_7:
	s_nop 0
	s_sendmsg sendmsg(MSG_DEALLOC_VGPRS)
	s_endpgm
	.section	.rodata,"a",@progbits
	.p2align	6, 0x0
	.amdhsa_kernel _ZN4vllm23rotary_embedding_kernelIfLb1EEEvPKlPT_S4_PKS3_illliii
		.amdhsa_group_segment_fixed_size 0
		.amdhsa_private_segment_fixed_size 0
		.amdhsa_kernarg_size 336
		.amdhsa_user_sgpr_count 15
		.amdhsa_user_sgpr_dispatch_ptr 0
		.amdhsa_user_sgpr_queue_ptr 0
		.amdhsa_user_sgpr_kernarg_segment_ptr 1
		.amdhsa_user_sgpr_dispatch_id 0
		.amdhsa_user_sgpr_private_segment_size 0
		.amdhsa_wavefront_size32 1
		.amdhsa_uses_dynamic_stack 0
		.amdhsa_enable_private_segment 0
		.amdhsa_system_sgpr_workgroup_id_x 1
		.amdhsa_system_sgpr_workgroup_id_y 0
		.amdhsa_system_sgpr_workgroup_id_z 0
		.amdhsa_system_sgpr_workgroup_info 0
		.amdhsa_system_vgpr_workitem_id 0
		.amdhsa_next_free_vgpr 12
		.amdhsa_next_free_sgpr 27
		.amdhsa_reserve_vcc 1
		.amdhsa_float_round_mode_32 0
		.amdhsa_float_round_mode_16_64 0
		.amdhsa_float_denorm_mode_32 3
		.amdhsa_float_denorm_mode_16_64 3
		.amdhsa_dx10_clamp 1
		.amdhsa_ieee_mode 1
		.amdhsa_fp16_overflow 0
		.amdhsa_workgroup_processor_mode 1
		.amdhsa_memory_ordered 1
		.amdhsa_forward_progress 0
		.amdhsa_shared_vgpr_count 0
		.amdhsa_exception_fp_ieee_invalid_op 0
		.amdhsa_exception_fp_denorm_src 0
		.amdhsa_exception_fp_ieee_div_zero 0
		.amdhsa_exception_fp_ieee_overflow 0
		.amdhsa_exception_fp_ieee_underflow 0
		.amdhsa_exception_fp_ieee_inexact 0
		.amdhsa_exception_int_div_zero 0
	.end_amdhsa_kernel
	.section	.text._ZN4vllm23rotary_embedding_kernelIfLb1EEEvPKlPT_S4_PKS3_illliii,"axG",@progbits,_ZN4vllm23rotary_embedding_kernelIfLb1EEEvPKlPT_S4_PKS3_illliii,comdat
.Lfunc_end0:
	.size	_ZN4vllm23rotary_embedding_kernelIfLb1EEEvPKlPT_S4_PKS3_illliii, .Lfunc_end0-_ZN4vllm23rotary_embedding_kernelIfLb1EEEvPKlPT_S4_PKS3_illliii
                                        ; -- End function
	.section	.AMDGPU.csdata,"",@progbits
; Kernel info:
; codeLenInByte = 1212
; NumSgprs: 29
; NumVgprs: 12
; ScratchSize: 0
; MemoryBound: 0
; FloatMode: 240
; IeeeMode: 1
; LDSByteSize: 0 bytes/workgroup (compile time only)
; SGPRBlocks: 3
; VGPRBlocks: 1
; NumSGPRsForWavesPerEU: 29
; NumVGPRsForWavesPerEU: 12
; Occupancy: 16
; WaveLimiterHint : 1
; COMPUTE_PGM_RSRC2:SCRATCH_EN: 0
; COMPUTE_PGM_RSRC2:USER_SGPR: 15
; COMPUTE_PGM_RSRC2:TRAP_HANDLER: 0
; COMPUTE_PGM_RSRC2:TGID_X_EN: 1
; COMPUTE_PGM_RSRC2:TGID_Y_EN: 0
; COMPUTE_PGM_RSRC2:TGID_Z_EN: 0
; COMPUTE_PGM_RSRC2:TIDIG_COMP_CNT: 0
	.section	.text._ZN4vllm23rotary_embedding_kernelIfLb0EEEvPKlPT_S4_PKS3_illliii,"axG",@progbits,_ZN4vllm23rotary_embedding_kernelIfLb0EEEvPKlPT_S4_PKS3_illliii,comdat
	.protected	_ZN4vllm23rotary_embedding_kernelIfLb0EEEvPKlPT_S4_PKS3_illliii ; -- Begin function _ZN4vllm23rotary_embedding_kernelIfLb0EEEvPKlPT_S4_PKS3_illliii
	.globl	_ZN4vllm23rotary_embedding_kernelIfLb0EEEvPKlPT_S4_PKS3_illliii
	.p2align	8
	.type	_ZN4vllm23rotary_embedding_kernelIfLb0EEEvPKlPT_S4_PKS3_illliii,@function
_ZN4vllm23rotary_embedding_kernelIfLb0EEEvPKlPT_S4_PKS3_illliii: ; @_ZN4vllm23rotary_embedding_kernelIfLb0EEEvPKlPT_S4_PKS3_illliii
; %bb.0:
	s_clause 0x1
	s_load_b32 s18, s[0:1], 0x20
	s_load_b64 s[2:3], s[0:1], 0x0
	s_mov_b32 s16, s15
	s_ashr_i32 s17, s15, 31
	s_load_b128 s[12:15], s[0:1], 0x10
	s_lshl_b64 s[4:5], s[16:17], 3
	s_waitcnt lgkmcnt(0)
	s_ashr_i32 s19, s18, 31
	s_add_u32 s2, s2, s4
	s_addc_u32 s3, s3, s5
	s_load_b64 s[2:3], s[2:3], 0x0
	s_load_b256 s[4:11], s[0:1], 0x28
	s_waitcnt lgkmcnt(0)
	s_mul_i32 s19, s2, s19
	s_mul_hi_u32 s20, s2, s18
	s_mul_i32 s3, s3, s18
	s_add_i32 s19, s20, s19
	s_mul_i32 s2, s2, s18
	s_add_i32 s3, s19, s3
	s_delay_alu instid0(SALU_CYCLE_1) | instskip(NEXT) | instid1(SALU_CYCLE_1)
	s_lshl_b64 s[2:3], s[2:3], 2
	s_add_u32 s14, s14, s2
	s_addc_u32 s15, s15, s3
	s_lshr_b32 s2, s18, 31
	s_delay_alu instid0(SALU_CYCLE_1) | instskip(NEXT) | instid1(SALU_CYCLE_1)
	s_add_i32 s18, s18, s2
	s_ashr_i32 s2, s18, 1
	s_delay_alu instid0(SALU_CYCLE_1) | instskip(SKIP_2) | instid1(SALU_CYCLE_1)
	s_ashr_i32 s3, s2, 31
	s_mul_i32 s19, s2, s10
	s_lshl_b64 s[20:21], s[2:3], 2
	s_add_u32 s10, s14, s20
	s_addc_u32 s18, s15, s21
	s_mov_b32 s20, exec_lo
	v_cmpx_gt_i32_e64 s19, v0
	s_cbranch_execz .LBB1_3
; %bb.1:
	s_load_b64 s[22:23], s[0:1], 0x8
	s_mul_i32 s5, s16, s5
	s_mul_hi_u32 s21, s16, s4
	s_mul_i32 s24, s17, s4
	s_add_i32 s5, s21, s5
	s_mul_i32 s4, s16, s4
	s_add_i32 s5, s5, s24
	s_load_b32 s24, s[0:1], 0x5c
	s_lshl_b64 s[4:5], s[4:5], 2
	s_waitcnt lgkmcnt(0)
	s_add_u32 s4, s22, s4
	s_addc_u32 s5, s23, s5
	s_abs_i32 s21, s2
	s_sub_i32 s26, 0, s2
	v_cvt_f32_u32_e32 v1, s21
	s_sub_i32 s22, 0, s21
	s_and_b32 s23, s24, 0xffff
	s_lshl_b32 s24, s2, 1
	s_delay_alu instid0(VALU_DEP_1) | instskip(SKIP_4) | instid1(VALU_DEP_1)
	v_rcp_iflag_f32_e32 v1, v1
	s_sub_i32 s24, 0, s24
	s_lshl_b32 s25, s23, 1
	s_waitcnt_depctr 0xfff
	v_mul_f32_e32 v1, 0x4f7ffffe, v1
	v_cvt_u32_f32_e32 v2, v1
	s_delay_alu instid0(VALU_DEP_1) | instskip(SKIP_1) | instid1(VALU_DEP_1)
	v_mul_lo_u32 v1, s22, v2
	s_mov_b32 s22, 0
	v_mul_hi_u32 v3, v2, v1
	v_lshlrev_b32_e32 v1, 1, v0
	s_delay_alu instid0(VALU_DEP_2)
	v_dual_mov_b32 v2, v0 :: v_dual_add_nc_u32 v3, v2, v3
.LBB1_2:                                ; =>This Inner Loop Header: Depth=1
	s_delay_alu instid0(VALU_DEP_1) | instskip(SKIP_1) | instid1(VALU_DEP_2)
	v_sub_nc_u32_e32 v4, 0, v2
	v_ashrrev_i32_e32 v5, 31, v2
	v_max_i32_e32 v4, v2, v4
	s_delay_alu instid0(VALU_DEP_2) | instskip(NEXT) | instid1(VALU_DEP_2)
	v_xor_b32_e32 v5, s3, v5
	v_mul_hi_u32 v6, v4, v3
	s_delay_alu instid0(VALU_DEP_1) | instskip(SKIP_1) | instid1(VALU_DEP_2)
	v_mul_lo_u32 v7, v6, s21
	v_add_nc_u32_e32 v8, 1, v6
	v_sub_nc_u32_e32 v4, v4, v7
	s_delay_alu instid0(VALU_DEP_1) | instskip(SKIP_1) | instid1(VALU_DEP_4)
	v_subrev_nc_u32_e32 v7, s21, v4
	v_cmp_le_u32_e32 vcc_lo, s21, v4
	v_cndmask_b32_e32 v6, v6, v8, vcc_lo
	s_delay_alu instid0(VALU_DEP_1) | instskip(NEXT) | instid1(VALU_DEP_1)
	v_dual_cndmask_b32 v4, v4, v7 :: v_dual_add_nc_u32 v7, 1, v6
	v_cmp_le_u32_e32 vcc_lo, s21, v4
	s_delay_alu instid0(VALU_DEP_2) | instskip(NEXT) | instid1(VALU_DEP_1)
	v_cndmask_b32_e32 v4, v6, v7, vcc_lo
	v_xor_b32_e32 v4, v4, v5
	s_delay_alu instid0(VALU_DEP_1) | instskip(NEXT) | instid1(VALU_DEP_1)
	v_sub_nc_u32_e32 v10, v4, v5
	v_mad_u64_u32 v[4:5], null, s26, v10, v[2:3]
	v_ashrrev_i32_e32 v11, 31, v10
	v_mul_lo_u32 v12, v10, s9
	v_mad_u64_u32 v[6:7], null, v10, s8, 0
	v_mad_u64_u32 v[8:9], null, s24, v10, v[1:2]
	v_add_nc_u32_e32 v1, s25, v1
	v_mul_lo_u32 v10, v11, s8
	v_ashrrev_i32_e32 v5, 31, v4
	s_delay_alu instid0(VALU_DEP_4) | instskip(NEXT) | instid1(VALU_DEP_2)
	v_ashrrev_i32_e32 v9, 31, v8
	v_lshlrev_b64 v[4:5], 2, v[4:5]
	s_delay_alu instid0(VALU_DEP_4) | instskip(NEXT) | instid1(VALU_DEP_3)
	v_add3_u32 v7, v7, v12, v10
	v_lshlrev_b64 v[8:9], 2, v[8:9]
	s_delay_alu instid0(VALU_DEP_3) | instskip(NEXT) | instid1(VALU_DEP_3)
	v_add_co_u32 v10, vcc_lo, s14, v4
	v_lshlrev_b64 v[6:7], 2, v[6:7]
	v_add_co_ci_u32_e32 v11, vcc_lo, s15, v5, vcc_lo
	v_add_co_u32 v4, vcc_lo, s10, v4
	v_add_co_ci_u32_e32 v5, vcc_lo, s18, v5, vcc_lo
	s_delay_alu instid0(VALU_DEP_4) | instskip(SKIP_1) | instid1(VALU_DEP_2)
	v_add_co_u32 v6, vcc_lo, s4, v6
	v_add_co_ci_u32_e32 v7, vcc_lo, s5, v7, vcc_lo
	v_add_co_u32 v6, vcc_lo, v6, v8
	s_delay_alu instid0(VALU_DEP_2)
	v_add_co_ci_u32_e32 v7, vcc_lo, v7, v9, vcc_lo
	s_clause 0x1
	global_load_b32 v8, v[10:11], off
	global_load_b32 v10, v[4:5], off
	global_load_b64 v[4:5], v[6:7], off
	s_waitcnt vmcnt(0)
	v_dual_mul_f32 v9, v8, v5 :: v_dual_add_nc_u32 v2, s23, v2
	v_mul_f32_e32 v11, v10, v5
	s_delay_alu instid0(VALU_DEP_2) | instskip(NEXT) | instid1(VALU_DEP_3)
	v_fmac_f32_e32 v9, v10, v4
	v_cmp_le_i32_e32 vcc_lo, s19, v2
	s_delay_alu instid0(VALU_DEP_3)
	v_fma_f32 v8, v8, v4, -v11
	s_or_b32 s22, vcc_lo, s22
	global_store_b64 v[6:7], v[8:9], off
	s_and_not1_b32 exec_lo, exec_lo, s22
	s_cbranch_execnz .LBB1_2
.LBB1_3:
	s_or_b32 exec_lo, exec_lo, s20
	s_cmp_lg_u64 s[12:13], 0
	s_cbranch_scc0 .LBB1_7
; %bb.4:
	s_mul_i32 s4, s2, s11
	s_mov_b32 s5, exec_lo
	v_cmpx_gt_i32_e64 s4, v0
	s_cbranch_execz .LBB1_7
; %bb.5:
	s_mul_i32 s5, s16, s7
	s_mul_hi_u32 s7, s16, s6
	s_load_b32 s1, s[0:1], 0x5c
	s_add_i32 s5, s7, s5
	s_mul_i32 s7, s17, s6
	s_mul_i32 s6, s16, s6
	s_add_i32 s7, s5, s7
	s_delay_alu instid0(SALU_CYCLE_1) | instskip(NEXT) | instid1(SALU_CYCLE_1)
	s_lshl_b64 s[6:7], s[6:7], 2
	s_add_u32 s5, s12, s6
	s_addc_u32 s6, s13, s7
	s_abs_i32 s7, s2
	s_lshl_b32 s11, s2, 1
	v_cvt_f32_u32_e32 v1, s7
	s_sub_i32 s0, 0, s7
	s_sub_i32 s11, 0, s11
	;; [unrolled: 1-line block ×3, first 2 shown]
	s_delay_alu instid0(VALU_DEP_1) | instskip(SKIP_2) | instid1(SALU_CYCLE_1)
	v_rcp_iflag_f32_e32 v1, v1
	s_waitcnt lgkmcnt(0)
	s_and_b32 s1, s1, 0xffff
	s_lshl_b32 s12, s1, 1
	s_waitcnt_depctr 0xfff
	v_mul_f32_e32 v1, 0x4f7ffffe, v1
	s_delay_alu instid0(VALU_DEP_1) | instskip(NEXT) | instid1(VALU_DEP_1)
	v_cvt_u32_f32_e32 v1, v1
	v_mul_lo_u32 v2, s0, v1
	s_mov_b32 s0, 0
	s_delay_alu instid0(VALU_DEP_1) | instskip(NEXT) | instid1(VALU_DEP_1)
	v_mul_hi_u32 v2, v1, v2
	v_add_nc_u32_e32 v2, v1, v2
	v_lshlrev_b32_e32 v1, 1, v0
.LBB1_6:                                ; =>This Inner Loop Header: Depth=1
	v_sub_nc_u32_e32 v3, 0, v0
	v_ashrrev_i32_e32 v4, 31, v0
	s_delay_alu instid0(VALU_DEP_2) | instskip(NEXT) | instid1(VALU_DEP_2)
	v_max_i32_e32 v3, v0, v3
	v_xor_b32_e32 v4, s3, v4
	s_delay_alu instid0(VALU_DEP_2) | instskip(NEXT) | instid1(VALU_DEP_1)
	v_mul_hi_u32 v5, v3, v2
	v_mul_lo_u32 v6, v5, s7
	v_add_nc_u32_e32 v7, 1, v5
	s_delay_alu instid0(VALU_DEP_2) | instskip(NEXT) | instid1(VALU_DEP_1)
	v_sub_nc_u32_e32 v3, v3, v6
	v_subrev_nc_u32_e32 v6, s7, v3
	v_cmp_le_u32_e32 vcc_lo, s7, v3
	s_delay_alu instid0(VALU_DEP_4) | instskip(NEXT) | instid1(VALU_DEP_1)
	v_cndmask_b32_e32 v5, v5, v7, vcc_lo
	v_dual_cndmask_b32 v3, v3, v6 :: v_dual_add_nc_u32 v6, 1, v5
	s_delay_alu instid0(VALU_DEP_1) | instskip(NEXT) | instid1(VALU_DEP_2)
	v_cmp_le_u32_e32 vcc_lo, s7, v3
	v_cndmask_b32_e32 v3, v5, v6, vcc_lo
	s_delay_alu instid0(VALU_DEP_1) | instskip(NEXT) | instid1(VALU_DEP_1)
	v_xor_b32_e32 v3, v3, v4
	v_sub_nc_u32_e32 v9, v3, v4
	s_delay_alu instid0(VALU_DEP_1) | instskip(SKIP_4) | instid1(VALU_DEP_4)
	v_mad_u64_u32 v[3:4], null, s2, v9, v[0:1]
	v_ashrrev_i32_e32 v10, 31, v9
	v_mul_lo_u32 v11, v9, s9
	v_mad_u64_u32 v[5:6], null, v9, s8, 0
	v_mad_u64_u32 v[7:8], null, s11, v9, v[1:2]
	v_mul_lo_u32 v9, v10, s8
	v_ashrrev_i32_e32 v4, 31, v3
	v_add_nc_u32_e32 v0, s1, v0
	v_add_nc_u32_e32 v1, s12, v1
	s_delay_alu instid0(VALU_DEP_3) | instskip(SKIP_2) | instid1(VALU_DEP_3)
	v_lshlrev_b64 v[3:4], 2, v[3:4]
	v_ashrrev_i32_e32 v8, 31, v7
	v_add3_u32 v6, v6, v11, v9
	v_add_co_u32 v9, vcc_lo, s14, v3
	s_delay_alu instid0(VALU_DEP_2)
	v_lshlrev_b64 v[5:6], 2, v[5:6]
	v_add_co_ci_u32_e32 v10, vcc_lo, s15, v4, vcc_lo
	v_add_co_u32 v3, vcc_lo, s10, v3
	v_lshlrev_b64 v[7:8], 2, v[7:8]
	v_add_co_ci_u32_e32 v4, vcc_lo, s18, v4, vcc_lo
	v_add_co_u32 v5, vcc_lo, s5, v5
	v_add_co_ci_u32_e32 v6, vcc_lo, s6, v6, vcc_lo
	s_delay_alu instid0(VALU_DEP_2) | instskip(NEXT) | instid1(VALU_DEP_2)
	v_add_co_u32 v5, vcc_lo, v5, v7
	v_add_co_ci_u32_e32 v6, vcc_lo, v6, v8, vcc_lo
	s_clause 0x1
	global_load_b32 v7, v[9:10], off
	global_load_b32 v9, v[3:4], off
	global_load_b64 v[3:4], v[5:6], off
	v_cmp_le_i32_e32 vcc_lo, s4, v0
	s_or_b32 s0, vcc_lo, s0
	s_waitcnt vmcnt(0)
	v_mul_f32_e32 v8, v7, v4
	v_mul_f32_e32 v10, v9, v4
	s_delay_alu instid0(VALU_DEP_2) | instskip(NEXT) | instid1(VALU_DEP_2)
	v_fmac_f32_e32 v8, v9, v3
	v_fma_f32 v7, v7, v3, -v10
	global_store_b64 v[5:6], v[7:8], off
	s_and_not1_b32 exec_lo, exec_lo, s0
	s_cbranch_execnz .LBB1_6
.LBB1_7:
	s_nop 0
	s_sendmsg sendmsg(MSG_DEALLOC_VGPRS)
	s_endpgm
	.section	.rodata,"a",@progbits
	.p2align	6, 0x0
	.amdhsa_kernel _ZN4vllm23rotary_embedding_kernelIfLb0EEEvPKlPT_S4_PKS3_illliii
		.amdhsa_group_segment_fixed_size 0
		.amdhsa_private_segment_fixed_size 0
		.amdhsa_kernarg_size 336
		.amdhsa_user_sgpr_count 15
		.amdhsa_user_sgpr_dispatch_ptr 0
		.amdhsa_user_sgpr_queue_ptr 0
		.amdhsa_user_sgpr_kernarg_segment_ptr 1
		.amdhsa_user_sgpr_dispatch_id 0
		.amdhsa_user_sgpr_private_segment_size 0
		.amdhsa_wavefront_size32 1
		.amdhsa_uses_dynamic_stack 0
		.amdhsa_enable_private_segment 0
		.amdhsa_system_sgpr_workgroup_id_x 1
		.amdhsa_system_sgpr_workgroup_id_y 0
		.amdhsa_system_sgpr_workgroup_id_z 0
		.amdhsa_system_sgpr_workgroup_info 0
		.amdhsa_system_vgpr_workitem_id 0
		.amdhsa_next_free_vgpr 13
		.amdhsa_next_free_sgpr 27
		.amdhsa_reserve_vcc 1
		.amdhsa_float_round_mode_32 0
		.amdhsa_float_round_mode_16_64 0
		.amdhsa_float_denorm_mode_32 3
		.amdhsa_float_denorm_mode_16_64 3
		.amdhsa_dx10_clamp 1
		.amdhsa_ieee_mode 1
		.amdhsa_fp16_overflow 0
		.amdhsa_workgroup_processor_mode 1
		.amdhsa_memory_ordered 1
		.amdhsa_forward_progress 0
		.amdhsa_shared_vgpr_count 0
		.amdhsa_exception_fp_ieee_invalid_op 0
		.amdhsa_exception_fp_denorm_src 0
		.amdhsa_exception_fp_ieee_div_zero 0
		.amdhsa_exception_fp_ieee_overflow 0
		.amdhsa_exception_fp_ieee_underflow 0
		.amdhsa_exception_fp_ieee_inexact 0
		.amdhsa_exception_int_div_zero 0
	.end_amdhsa_kernel
	.section	.text._ZN4vllm23rotary_embedding_kernelIfLb0EEEvPKlPT_S4_PKS3_illliii,"axG",@progbits,_ZN4vllm23rotary_embedding_kernelIfLb0EEEvPKlPT_S4_PKS3_illliii,comdat
.Lfunc_end1:
	.size	_ZN4vllm23rotary_embedding_kernelIfLb0EEEvPKlPT_S4_PKS3_illliii, .Lfunc_end1-_ZN4vllm23rotary_embedding_kernelIfLb0EEEvPKlPT_S4_PKS3_illliii
                                        ; -- End function
	.section	.AMDGPU.csdata,"",@progbits
; Kernel info:
; codeLenInByte = 1204
; NumSgprs: 29
; NumVgprs: 13
; ScratchSize: 0
; MemoryBound: 0
; FloatMode: 240
; IeeeMode: 1
; LDSByteSize: 0 bytes/workgroup (compile time only)
; SGPRBlocks: 3
; VGPRBlocks: 1
; NumSGPRsForWavesPerEU: 29
; NumVGPRsForWavesPerEU: 13
; Occupancy: 16
; WaveLimiterHint : 1
; COMPUTE_PGM_RSRC2:SCRATCH_EN: 0
; COMPUTE_PGM_RSRC2:USER_SGPR: 15
; COMPUTE_PGM_RSRC2:TRAP_HANDLER: 0
; COMPUTE_PGM_RSRC2:TGID_X_EN: 1
; COMPUTE_PGM_RSRC2:TGID_Y_EN: 0
; COMPUTE_PGM_RSRC2:TGID_Z_EN: 0
; COMPUTE_PGM_RSRC2:TIDIG_COMP_CNT: 0
	.section	.text._ZN4vllm23rotary_embedding_kernelIN3c104HalfELb1EEEvPKlPT_S6_PKS5_illliii,"axG",@progbits,_ZN4vllm23rotary_embedding_kernelIN3c104HalfELb1EEEvPKlPT_S6_PKS5_illliii,comdat
	.protected	_ZN4vllm23rotary_embedding_kernelIN3c104HalfELb1EEEvPKlPT_S6_PKS5_illliii ; -- Begin function _ZN4vllm23rotary_embedding_kernelIN3c104HalfELb1EEEvPKlPT_S6_PKS5_illliii
	.globl	_ZN4vllm23rotary_embedding_kernelIN3c104HalfELb1EEEvPKlPT_S6_PKS5_illliii
	.p2align	8
	.type	_ZN4vllm23rotary_embedding_kernelIN3c104HalfELb1EEEvPKlPT_S6_PKS5_illliii,@function
_ZN4vllm23rotary_embedding_kernelIN3c104HalfELb1EEEvPKlPT_S6_PKS5_illliii: ; @_ZN4vllm23rotary_embedding_kernelIN3c104HalfELb1EEEvPKlPT_S6_PKS5_illliii
; %bb.0:
	s_clause 0x1
	s_load_b32 s20, s[0:1], 0x20
	s_load_b64 s[2:3], s[0:1], 0x0
	s_mov_b32 s16, s15
	s_ashr_i32 s17, s15, 31
	s_load_b128 s[12:15], s[0:1], 0x10
	s_lshl_b64 s[4:5], s[16:17], 3
	s_mov_b32 s21, exec_lo
	s_waitcnt lgkmcnt(0)
	s_ashr_i32 s18, s20, 31
	s_add_u32 s2, s2, s4
	s_addc_u32 s3, s3, s5
	s_load_b64 s[2:3], s[2:3], 0x0
	s_load_b256 s[4:11], s[0:1], 0x28
	s_waitcnt lgkmcnt(0)
	s_mul_i32 s18, s2, s18
	s_mul_hi_u32 s19, s2, s20
	s_mul_i32 s3, s3, s20
	s_add_i32 s18, s19, s18
	s_mul_i32 s2, s2, s20
	s_add_i32 s3, s18, s3
	s_delay_alu instid0(SALU_CYCLE_1) | instskip(NEXT) | instid1(SALU_CYCLE_1)
	s_lshl_b64 s[2:3], s[2:3], 1
	s_add_u32 s18, s14, s2
	s_addc_u32 s19, s15, s3
	s_lshr_b32 s2, s20, 31
	s_delay_alu instid0(SALU_CYCLE_1) | instskip(NEXT) | instid1(SALU_CYCLE_1)
	s_add_i32 s20, s20, s2
	s_ashr_i32 s14, s20, 1
	s_delay_alu instid0(SALU_CYCLE_1) | instskip(SKIP_2) | instid1(SALU_CYCLE_1)
	s_ashr_i32 s15, s14, 31
	s_mul_i32 s20, s14, s10
	s_lshl_b64 s[2:3], s[14:15], 1
	s_add_u32 s10, s18, s2
	s_addc_u32 s15, s19, s3
	v_cmpx_gt_i32_e64 s20, v0
	s_cbranch_execz .LBB2_3
; %bb.1:
	s_load_b64 s[22:23], s[0:1], 0x8
	s_mul_i32 s5, s16, s5
	s_mul_hi_u32 s24, s16, s4
	s_mul_i32 s25, s17, s4
	s_add_i32 s5, s24, s5
	s_load_b32 s24, s[0:1], 0x5c
	s_mul_i32 s4, s16, s4
	s_add_i32 s5, s5, s25
	s_mov_b32 s25, 0
	s_lshl_b64 s[4:5], s[4:5], 1
	s_waitcnt lgkmcnt(0)
	s_add_u32 s4, s22, s4
	s_addc_u32 s5, s23, s5
	s_abs_i32 s22, s14
	s_sub_i32 s26, 0, s14
	v_cvt_f32_u32_e32 v1, s22
	s_sub_i32 s23, 0, s22
	s_delay_alu instid0(VALU_DEP_1) | instskip(SKIP_2) | instid1(VALU_DEP_1)
	v_rcp_iflag_f32_e32 v1, v1
	s_waitcnt_depctr 0xfff
	v_mul_f32_e32 v1, 0x4f7ffffe, v1
	v_cvt_u32_f32_e32 v1, v1
	s_delay_alu instid0(VALU_DEP_1) | instskip(SKIP_2) | instid1(VALU_DEP_1)
	v_mul_lo_u32 v2, s23, v1
	s_and_b32 s23, s24, 0xffff
	s_ashr_i32 s24, s14, 31
	v_mul_hi_u32 v2, v1, v2
	s_delay_alu instid0(VALU_DEP_1)
	v_dual_mov_b32 v1, v0 :: v_dual_add_nc_u32 v2, v1, v2
.LBB2_2:                                ; =>This Inner Loop Header: Depth=1
	s_delay_alu instid0(VALU_DEP_1) | instskip(SKIP_1) | instid1(VALU_DEP_2)
	v_sub_nc_u32_e32 v3, 0, v1
	v_ashrrev_i32_e32 v4, 31, v1
	v_max_i32_e32 v3, v1, v3
	s_delay_alu instid0(VALU_DEP_2) | instskip(NEXT) | instid1(VALU_DEP_2)
	v_xor_b32_e32 v4, s24, v4
	v_mul_hi_u32 v5, v3, v2
	s_delay_alu instid0(VALU_DEP_1) | instskip(SKIP_1) | instid1(VALU_DEP_2)
	v_mul_lo_u32 v6, v5, s22
	v_add_nc_u32_e32 v7, 1, v5
	v_sub_nc_u32_e32 v3, v3, v6
	s_delay_alu instid0(VALU_DEP_1) | instskip(SKIP_1) | instid1(VALU_DEP_4)
	v_subrev_nc_u32_e32 v6, s22, v3
	v_cmp_le_u32_e32 vcc_lo, s22, v3
	v_cndmask_b32_e32 v5, v5, v7, vcc_lo
	s_delay_alu instid0(VALU_DEP_1) | instskip(NEXT) | instid1(VALU_DEP_1)
	v_dual_cndmask_b32 v3, v3, v6 :: v_dual_add_nc_u32 v6, 1, v5
	v_cmp_le_u32_e32 vcc_lo, s22, v3
	s_delay_alu instid0(VALU_DEP_2) | instskip(NEXT) | instid1(VALU_DEP_1)
	v_cndmask_b32_e32 v3, v5, v6, vcc_lo
	v_xor_b32_e32 v3, v3, v4
	s_delay_alu instid0(VALU_DEP_1) | instskip(NEXT) | instid1(VALU_DEP_1)
	v_sub_nc_u32_e32 v7, v3, v4
	v_mad_u64_u32 v[3:4], null, s26, v7, v[1:2]
	v_ashrrev_i32_e32 v8, 31, v7
	v_mul_lo_u32 v9, v7, s9
	v_mad_u64_u32 v[5:6], null, v7, s8, 0
	v_add_nc_u32_e32 v1, s23, v1
	s_delay_alu instid0(VALU_DEP_4) | instskip(SKIP_1) | instid1(VALU_DEP_1)
	v_mul_lo_u32 v7, v8, s8
	v_ashrrev_i32_e32 v4, 31, v3
	v_lshlrev_b64 v[3:4], 1, v[3:4]
	s_delay_alu instid0(VALU_DEP_3) | instskip(NEXT) | instid1(VALU_DEP_2)
	v_add3_u32 v6, v6, v9, v7
	v_add_co_u32 v7, vcc_lo, s18, v3
	s_delay_alu instid0(VALU_DEP_2) | instskip(NEXT) | instid1(VALU_DEP_4)
	v_lshlrev_b64 v[5:6], 1, v[5:6]
	v_add_co_ci_u32_e32 v8, vcc_lo, s19, v4, vcc_lo
	v_add_co_u32 v9, vcc_lo, s10, v3
	v_add_co_ci_u32_e32 v10, vcc_lo, s15, v4, vcc_lo
	s_delay_alu instid0(VALU_DEP_4) | instskip(SKIP_1) | instid1(VALU_DEP_2)
	v_add_co_u32 v5, vcc_lo, s4, v5
	v_add_co_ci_u32_e32 v6, vcc_lo, s5, v6, vcc_lo
	v_add_co_u32 v3, vcc_lo, v5, v3
	s_delay_alu instid0(VALU_DEP_2) | instskip(NEXT) | instid1(VALU_DEP_2)
	v_add_co_ci_u32_e32 v4, vcc_lo, v6, v4, vcc_lo
	v_add_co_u32 v5, vcc_lo, v3, s2
	s_delay_alu instid0(VALU_DEP_2)
	v_add_co_ci_u32_e32 v6, vcc_lo, s3, v4, vcc_lo
	s_clause 0x1
	global_load_u16 v7, v[7:8], off
	global_load_u16 v8, v[9:10], off
	s_clause 0x1
	global_load_u16 v9, v[3:4], off
	global_load_u16 v10, v[5:6], off
	v_cmp_le_i32_e32 vcc_lo, s20, v1
	s_or_b32 s25, vcc_lo, s25
	s_waitcnt vmcnt(0)
	v_mul_f16_e32 v11, v8, v10
	v_mul_f16_e32 v10, v7, v10
	s_delay_alu instid0(VALU_DEP_2) | instskip(NEXT) | instid1(VALU_DEP_2)
	v_fma_f16 v7, v7, v9, -v11
	v_fmac_f16_e32 v10, v8, v9
	s_clause 0x1
	global_store_b16 v[3:4], v7, off
	global_store_b16 v[5:6], v10, off
	s_and_not1_b32 exec_lo, exec_lo, s25
	s_cbranch_execnz .LBB2_2
.LBB2_3:
	s_or_b32 exec_lo, exec_lo, s21
	s_cmp_lg_u64 s[12:13], 0
	s_cbranch_scc0 .LBB2_7
; %bb.4:
	s_mul_i32 s4, s14, s11
	s_mov_b32 s5, exec_lo
	v_cmpx_gt_i32_e64 s4, v0
	s_cbranch_execz .LBB2_7
; %bb.5:
	s_mul_i32 s5, s16, s7
	s_mul_hi_u32 s7, s16, s6
	s_load_b32 s0, s[0:1], 0x5c
	s_add_i32 s5, s7, s5
	s_mul_i32 s7, s17, s6
	s_mul_i32 s6, s16, s6
	s_add_i32 s7, s5, s7
	s_mov_b32 s11, 0
	s_lshl_b64 s[6:7], s[6:7], 1
	s_delay_alu instid0(SALU_CYCLE_1)
	s_add_u32 s5, s12, s6
	s_addc_u32 s6, s13, s7
	s_abs_i32 s7, s14
	s_sub_i32 s12, 0, s14
	v_cvt_f32_u32_e32 v1, s7
	s_sub_i32 s1, 0, s7
	s_delay_alu instid0(VALU_DEP_1) | instskip(SKIP_4) | instid1(VALU_DEP_1)
	v_rcp_iflag_f32_e32 v1, v1
	s_waitcnt lgkmcnt(0)
	s_and_b32 s0, s0, 0xffff
	s_waitcnt_depctr 0xfff
	v_mul_f32_e32 v1, 0x4f7ffffe, v1
	v_cvt_u32_f32_e32 v1, v1
	s_delay_alu instid0(VALU_DEP_1) | instskip(SKIP_1) | instid1(VALU_DEP_1)
	v_mul_lo_u32 v2, s1, v1
	s_ashr_i32 s1, s14, 31
	v_mul_hi_u32 v2, v1, v2
	s_delay_alu instid0(VALU_DEP_1)
	v_add_nc_u32_e32 v1, v1, v2
.LBB2_6:                                ; =>This Inner Loop Header: Depth=1
	v_sub_nc_u32_e32 v2, 0, v0
	v_ashrrev_i32_e32 v3, 31, v0
	s_delay_alu instid0(VALU_DEP_2) | instskip(NEXT) | instid1(VALU_DEP_2)
	v_max_i32_e32 v2, v0, v2
	v_xor_b32_e32 v3, s1, v3
	s_delay_alu instid0(VALU_DEP_2) | instskip(NEXT) | instid1(VALU_DEP_1)
	v_mul_hi_u32 v4, v2, v1
	v_mul_lo_u32 v5, v4, s7
	v_add_nc_u32_e32 v6, 1, v4
	s_delay_alu instid0(VALU_DEP_2) | instskip(NEXT) | instid1(VALU_DEP_1)
	v_sub_nc_u32_e32 v2, v2, v5
	v_subrev_nc_u32_e32 v5, s7, v2
	v_cmp_le_u32_e32 vcc_lo, s7, v2
	s_delay_alu instid0(VALU_DEP_4) | instskip(NEXT) | instid1(VALU_DEP_1)
	v_cndmask_b32_e32 v4, v4, v6, vcc_lo
	v_dual_cndmask_b32 v2, v2, v5 :: v_dual_add_nc_u32 v5, 1, v4
	s_delay_alu instid0(VALU_DEP_1) | instskip(NEXT) | instid1(VALU_DEP_2)
	v_cmp_le_u32_e32 vcc_lo, s7, v2
	v_cndmask_b32_e32 v2, v4, v5, vcc_lo
	s_delay_alu instid0(VALU_DEP_1) | instskip(NEXT) | instid1(VALU_DEP_1)
	v_xor_b32_e32 v2, v2, v3
	v_sub_nc_u32_e32 v6, v2, v3
	s_delay_alu instid0(VALU_DEP_1) | instskip(SKIP_4) | instid1(VALU_DEP_4)
	v_mad_u64_u32 v[2:3], null, s12, v6, v[0:1]
	v_ashrrev_i32_e32 v7, 31, v6
	v_mul_lo_u32 v8, v6, s9
	v_mad_u64_u32 v[4:5], null, v6, s8, 0
	v_add_nc_u32_e32 v0, s0, v0
	v_mul_lo_u32 v6, v7, s8
	v_ashrrev_i32_e32 v3, 31, v2
	s_delay_alu instid0(VALU_DEP_1) | instskip(NEXT) | instid1(VALU_DEP_3)
	v_lshlrev_b64 v[2:3], 1, v[2:3]
	v_add3_u32 v5, v5, v8, v6
	s_delay_alu instid0(VALU_DEP_2) | instskip(NEXT) | instid1(VALU_DEP_2)
	v_add_co_u32 v6, vcc_lo, s18, v2
	v_lshlrev_b64 v[4:5], 1, v[4:5]
	s_delay_alu instid0(VALU_DEP_4) | instskip(SKIP_2) | instid1(VALU_DEP_4)
	v_add_co_ci_u32_e32 v7, vcc_lo, s19, v3, vcc_lo
	v_add_co_u32 v8, vcc_lo, s10, v2
	v_add_co_ci_u32_e32 v9, vcc_lo, s15, v3, vcc_lo
	v_add_co_u32 v4, vcc_lo, s5, v4
	v_add_co_ci_u32_e32 v5, vcc_lo, s6, v5, vcc_lo
	s_delay_alu instid0(VALU_DEP_2) | instskip(NEXT) | instid1(VALU_DEP_2)
	v_add_co_u32 v2, vcc_lo, v4, v2
	v_add_co_ci_u32_e32 v3, vcc_lo, v5, v3, vcc_lo
	s_delay_alu instid0(VALU_DEP_2) | instskip(NEXT) | instid1(VALU_DEP_2)
	v_add_co_u32 v4, vcc_lo, v2, s2
	v_add_co_ci_u32_e32 v5, vcc_lo, s3, v3, vcc_lo
	s_clause 0x1
	global_load_u16 v6, v[6:7], off
	global_load_u16 v7, v[8:9], off
	s_clause 0x1
	global_load_u16 v8, v[2:3], off
	global_load_u16 v9, v[4:5], off
	v_cmp_le_i32_e32 vcc_lo, s4, v0
	s_or_b32 s11, vcc_lo, s11
	s_waitcnt vmcnt(0)
	v_mul_f16_e32 v10, v7, v9
	v_mul_f16_e32 v9, v6, v9
	s_delay_alu instid0(VALU_DEP_2) | instskip(NEXT) | instid1(VALU_DEP_2)
	v_fma_f16 v6, v6, v8, -v10
	v_fmac_f16_e32 v9, v7, v8
	s_clause 0x1
	global_store_b16 v[2:3], v6, off
	global_store_b16 v[4:5], v9, off
	s_and_not1_b32 exec_lo, exec_lo, s11
	s_cbranch_execnz .LBB2_6
.LBB2_7:
	s_nop 0
	s_sendmsg sendmsg(MSG_DEALLOC_VGPRS)
	s_endpgm
	.section	.rodata,"a",@progbits
	.p2align	6, 0x0
	.amdhsa_kernel _ZN4vllm23rotary_embedding_kernelIN3c104HalfELb1EEEvPKlPT_S6_PKS5_illliii
		.amdhsa_group_segment_fixed_size 0
		.amdhsa_private_segment_fixed_size 0
		.amdhsa_kernarg_size 336
		.amdhsa_user_sgpr_count 15
		.amdhsa_user_sgpr_dispatch_ptr 0
		.amdhsa_user_sgpr_queue_ptr 0
		.amdhsa_user_sgpr_kernarg_segment_ptr 1
		.amdhsa_user_sgpr_dispatch_id 0
		.amdhsa_user_sgpr_private_segment_size 0
		.amdhsa_wavefront_size32 1
		.amdhsa_uses_dynamic_stack 0
		.amdhsa_enable_private_segment 0
		.amdhsa_system_sgpr_workgroup_id_x 1
		.amdhsa_system_sgpr_workgroup_id_y 0
		.amdhsa_system_sgpr_workgroup_id_z 0
		.amdhsa_system_sgpr_workgroup_info 0
		.amdhsa_system_vgpr_workitem_id 0
		.amdhsa_next_free_vgpr 12
		.amdhsa_next_free_sgpr 27
		.amdhsa_reserve_vcc 1
		.amdhsa_float_round_mode_32 0
		.amdhsa_float_round_mode_16_64 0
		.amdhsa_float_denorm_mode_32 3
		.amdhsa_float_denorm_mode_16_64 3
		.amdhsa_dx10_clamp 1
		.amdhsa_ieee_mode 1
		.amdhsa_fp16_overflow 0
		.amdhsa_workgroup_processor_mode 1
		.amdhsa_memory_ordered 1
		.amdhsa_forward_progress 0
		.amdhsa_shared_vgpr_count 0
		.amdhsa_exception_fp_ieee_invalid_op 0
		.amdhsa_exception_fp_denorm_src 0
		.amdhsa_exception_fp_ieee_div_zero 0
		.amdhsa_exception_fp_ieee_overflow 0
		.amdhsa_exception_fp_ieee_underflow 0
		.amdhsa_exception_fp_ieee_inexact 0
		.amdhsa_exception_int_div_zero 0
	.end_amdhsa_kernel
	.section	.text._ZN4vllm23rotary_embedding_kernelIN3c104HalfELb1EEEvPKlPT_S6_PKS5_illliii,"axG",@progbits,_ZN4vllm23rotary_embedding_kernelIN3c104HalfELb1EEEvPKlPT_S6_PKS5_illliii,comdat
.Lfunc_end2:
	.size	_ZN4vllm23rotary_embedding_kernelIN3c104HalfELb1EEEvPKlPT_S6_PKS5_illliii, .Lfunc_end2-_ZN4vllm23rotary_embedding_kernelIN3c104HalfELb1EEEvPKlPT_S6_PKS5_illliii
                                        ; -- End function
	.section	.AMDGPU.csdata,"",@progbits
; Kernel info:
; codeLenInByte = 1212
; NumSgprs: 29
; NumVgprs: 12
; ScratchSize: 0
; MemoryBound: 0
; FloatMode: 240
; IeeeMode: 1
; LDSByteSize: 0 bytes/workgroup (compile time only)
; SGPRBlocks: 3
; VGPRBlocks: 1
; NumSGPRsForWavesPerEU: 29
; NumVGPRsForWavesPerEU: 12
; Occupancy: 16
; WaveLimiterHint : 1
; COMPUTE_PGM_RSRC2:SCRATCH_EN: 0
; COMPUTE_PGM_RSRC2:USER_SGPR: 15
; COMPUTE_PGM_RSRC2:TRAP_HANDLER: 0
; COMPUTE_PGM_RSRC2:TGID_X_EN: 1
; COMPUTE_PGM_RSRC2:TGID_Y_EN: 0
; COMPUTE_PGM_RSRC2:TGID_Z_EN: 0
; COMPUTE_PGM_RSRC2:TIDIG_COMP_CNT: 0
	.section	.text._ZN4vllm23rotary_embedding_kernelIN3c104HalfELb0EEEvPKlPT_S6_PKS5_illliii,"axG",@progbits,_ZN4vllm23rotary_embedding_kernelIN3c104HalfELb0EEEvPKlPT_S6_PKS5_illliii,comdat
	.protected	_ZN4vllm23rotary_embedding_kernelIN3c104HalfELb0EEEvPKlPT_S6_PKS5_illliii ; -- Begin function _ZN4vllm23rotary_embedding_kernelIN3c104HalfELb0EEEvPKlPT_S6_PKS5_illliii
	.globl	_ZN4vllm23rotary_embedding_kernelIN3c104HalfELb0EEEvPKlPT_S6_PKS5_illliii
	.p2align	8
	.type	_ZN4vllm23rotary_embedding_kernelIN3c104HalfELb0EEEvPKlPT_S6_PKS5_illliii,@function
_ZN4vllm23rotary_embedding_kernelIN3c104HalfELb0EEEvPKlPT_S6_PKS5_illliii: ; @_ZN4vllm23rotary_embedding_kernelIN3c104HalfELb0EEEvPKlPT_S6_PKS5_illliii
; %bb.0:
	s_clause 0x1
	s_load_b32 s18, s[0:1], 0x20
	s_load_b64 s[2:3], s[0:1], 0x0
	s_mov_b32 s16, s15
	s_ashr_i32 s17, s15, 31
	s_load_b128 s[12:15], s[0:1], 0x10
	s_lshl_b64 s[4:5], s[16:17], 3
	s_waitcnt lgkmcnt(0)
	s_ashr_i32 s19, s18, 31
	s_add_u32 s2, s2, s4
	s_addc_u32 s3, s3, s5
	s_load_b64 s[2:3], s[2:3], 0x0
	s_load_b256 s[4:11], s[0:1], 0x28
	s_waitcnt lgkmcnt(0)
	s_mul_i32 s19, s2, s19
	s_mul_hi_u32 s20, s2, s18
	s_mul_i32 s3, s3, s18
	s_add_i32 s19, s20, s19
	s_mul_i32 s2, s2, s18
	s_add_i32 s3, s19, s3
	s_delay_alu instid0(SALU_CYCLE_1) | instskip(NEXT) | instid1(SALU_CYCLE_1)
	s_lshl_b64 s[2:3], s[2:3], 1
	s_add_u32 s14, s14, s2
	s_addc_u32 s15, s15, s3
	s_lshr_b32 s2, s18, 31
	s_delay_alu instid0(SALU_CYCLE_1) | instskip(NEXT) | instid1(SALU_CYCLE_1)
	s_add_i32 s18, s18, s2
	s_ashr_i32 s2, s18, 1
	s_delay_alu instid0(SALU_CYCLE_1) | instskip(SKIP_2) | instid1(SALU_CYCLE_1)
	s_ashr_i32 s3, s2, 31
	s_mul_i32 s19, s2, s10
	s_lshl_b64 s[20:21], s[2:3], 1
	s_add_u32 s10, s14, s20
	s_addc_u32 s18, s15, s21
	s_mov_b32 s20, exec_lo
	v_cmpx_gt_i32_e64 s19, v0
	s_cbranch_execz .LBB3_3
; %bb.1:
	s_load_b64 s[22:23], s[0:1], 0x8
	s_mul_i32 s5, s16, s5
	s_mul_hi_u32 s21, s16, s4
	s_mul_i32 s24, s17, s4
	s_add_i32 s5, s21, s5
	s_mul_i32 s4, s16, s4
	s_add_i32 s5, s5, s24
	s_load_b32 s24, s[0:1], 0x5c
	s_lshl_b64 s[4:5], s[4:5], 1
	s_waitcnt lgkmcnt(0)
	s_add_u32 s4, s22, s4
	s_addc_u32 s5, s23, s5
	s_abs_i32 s21, s2
	s_sub_i32 s26, 0, s2
	v_cvt_f32_u32_e32 v1, s21
	s_sub_i32 s22, 0, s21
	s_and_b32 s23, s24, 0xffff
	s_lshl_b32 s24, s2, 1
	s_delay_alu instid0(VALU_DEP_1) | instskip(SKIP_4) | instid1(VALU_DEP_1)
	v_rcp_iflag_f32_e32 v1, v1
	s_sub_i32 s24, 0, s24
	s_lshl_b32 s25, s23, 1
	s_waitcnt_depctr 0xfff
	v_mul_f32_e32 v1, 0x4f7ffffe, v1
	v_cvt_u32_f32_e32 v2, v1
	s_delay_alu instid0(VALU_DEP_1) | instskip(SKIP_1) | instid1(VALU_DEP_1)
	v_mul_lo_u32 v1, s22, v2
	s_mov_b32 s22, 0
	v_mul_hi_u32 v3, v2, v1
	v_lshlrev_b32_e32 v1, 1, v0
	s_delay_alu instid0(VALU_DEP_2)
	v_dual_mov_b32 v2, v0 :: v_dual_add_nc_u32 v3, v2, v3
.LBB3_2:                                ; =>This Inner Loop Header: Depth=1
	s_delay_alu instid0(VALU_DEP_1) | instskip(SKIP_1) | instid1(VALU_DEP_2)
	v_sub_nc_u32_e32 v4, 0, v2
	v_ashrrev_i32_e32 v5, 31, v2
	v_max_i32_e32 v4, v2, v4
	s_delay_alu instid0(VALU_DEP_2) | instskip(NEXT) | instid1(VALU_DEP_2)
	v_xor_b32_e32 v5, s3, v5
	v_mul_hi_u32 v6, v4, v3
	s_delay_alu instid0(VALU_DEP_1) | instskip(SKIP_1) | instid1(VALU_DEP_2)
	v_mul_lo_u32 v7, v6, s21
	v_add_nc_u32_e32 v8, 1, v6
	v_sub_nc_u32_e32 v4, v4, v7
	s_delay_alu instid0(VALU_DEP_1) | instskip(SKIP_1) | instid1(VALU_DEP_4)
	v_subrev_nc_u32_e32 v7, s21, v4
	v_cmp_le_u32_e32 vcc_lo, s21, v4
	v_cndmask_b32_e32 v6, v6, v8, vcc_lo
	s_delay_alu instid0(VALU_DEP_1) | instskip(NEXT) | instid1(VALU_DEP_1)
	v_dual_cndmask_b32 v4, v4, v7 :: v_dual_add_nc_u32 v7, 1, v6
	v_cmp_le_u32_e32 vcc_lo, s21, v4
	s_delay_alu instid0(VALU_DEP_2) | instskip(NEXT) | instid1(VALU_DEP_1)
	v_cndmask_b32_e32 v4, v6, v7, vcc_lo
	v_xor_b32_e32 v4, v4, v5
	s_delay_alu instid0(VALU_DEP_1) | instskip(NEXT) | instid1(VALU_DEP_1)
	v_sub_nc_u32_e32 v10, v4, v5
	v_ashrrev_i32_e32 v11, 31, v10
	v_mad_u64_u32 v[4:5], null, s26, v10, v[2:3]
	v_mul_lo_u32 v12, v10, s9
	v_mad_u64_u32 v[6:7], null, v10, s8, 0
	v_mad_u64_u32 v[8:9], null, s24, v10, v[1:2]
	v_mul_lo_u32 v10, v11, s8
	v_ashrrev_i32_e32 v5, 31, v4
	v_add_nc_u32_e32 v2, s23, v2
	v_add_nc_u32_e32 v1, s25, v1
	s_delay_alu instid0(VALU_DEP_3) | instskip(SKIP_2) | instid1(VALU_DEP_3)
	v_lshlrev_b64 v[4:5], 1, v[4:5]
	v_ashrrev_i32_e32 v9, 31, v8
	v_add3_u32 v7, v7, v12, v10
	v_add_co_u32 v10, vcc_lo, s14, v4
	s_delay_alu instid0(VALU_DEP_2) | instskip(NEXT) | instid1(VALU_DEP_4)
	v_lshlrev_b64 v[6:7], 1, v[6:7]
	v_lshlrev_b64 v[8:9], 1, v[8:9]
	v_add_co_ci_u32_e32 v11, vcc_lo, s15, v5, vcc_lo
	s_delay_alu instid0(VALU_DEP_3) | instskip(NEXT) | instid1(VALU_DEP_4)
	v_add_co_u32 v6, vcc_lo, s4, v6
	v_add_co_ci_u32_e32 v7, vcc_lo, s5, v7, vcc_lo
	s_delay_alu instid0(VALU_DEP_2) | instskip(NEXT) | instid1(VALU_DEP_2)
	v_add_co_u32 v6, vcc_lo, v6, v8
	v_add_co_ci_u32_e32 v7, vcc_lo, v7, v9, vcc_lo
	v_add_co_u32 v4, vcc_lo, s10, v4
	v_add_co_ci_u32_e32 v5, vcc_lo, s18, v5, vcc_lo
	global_load_b32 v8, v[6:7], off
	s_clause 0x1
	global_load_u16 v4, v[4:5], off
	global_load_u16 v5, v[10:11], off
	v_cmp_le_i32_e32 vcc_lo, s19, v2
	s_or_b32 s22, vcc_lo, s22
	s_waitcnt vmcnt(2)
	v_lshrrev_b32_e32 v9, 16, v8
	s_waitcnt vmcnt(1)
	s_delay_alu instid0(VALU_DEP_1) | instskip(SKIP_2) | instid1(VALU_DEP_2)
	v_mul_f16_e32 v10, v4, v9
	s_waitcnt vmcnt(0)
	v_mul_f16_e32 v9, v5, v9
	v_fma_f16 v5, v5, v8, -v10
	s_delay_alu instid0(VALU_DEP_2) | instskip(NEXT) | instid1(VALU_DEP_1)
	v_fmac_f16_e32 v9, v4, v8
	v_pack_b32_f16 v4, v5, v9
	global_store_b32 v[6:7], v4, off
	s_and_not1_b32 exec_lo, exec_lo, s22
	s_cbranch_execnz .LBB3_2
.LBB3_3:
	s_or_b32 exec_lo, exec_lo, s20
	s_cmp_lg_u64 s[12:13], 0
	s_cbranch_scc0 .LBB3_7
; %bb.4:
	s_mul_i32 s4, s2, s11
	s_mov_b32 s5, exec_lo
	v_cmpx_gt_i32_e64 s4, v0
	s_cbranch_execz .LBB3_7
; %bb.5:
	s_mul_i32 s5, s16, s7
	s_mul_hi_u32 s7, s16, s6
	s_load_b32 s1, s[0:1], 0x5c
	s_add_i32 s5, s7, s5
	s_mul_i32 s7, s17, s6
	s_mul_i32 s6, s16, s6
	s_add_i32 s7, s5, s7
	s_delay_alu instid0(SALU_CYCLE_1) | instskip(NEXT) | instid1(SALU_CYCLE_1)
	s_lshl_b64 s[6:7], s[6:7], 1
	s_add_u32 s5, s12, s6
	s_addc_u32 s6, s13, s7
	s_abs_i32 s7, s2
	s_lshl_b32 s11, s2, 1
	v_cvt_f32_u32_e32 v1, s7
	s_sub_i32 s0, 0, s7
	s_sub_i32 s11, 0, s11
	;; [unrolled: 1-line block ×3, first 2 shown]
	s_delay_alu instid0(VALU_DEP_1) | instskip(SKIP_2) | instid1(SALU_CYCLE_1)
	v_rcp_iflag_f32_e32 v1, v1
	s_waitcnt lgkmcnt(0)
	s_and_b32 s1, s1, 0xffff
	s_lshl_b32 s12, s1, 1
	s_waitcnt_depctr 0xfff
	v_mul_f32_e32 v1, 0x4f7ffffe, v1
	s_delay_alu instid0(VALU_DEP_1) | instskip(NEXT) | instid1(VALU_DEP_1)
	v_cvt_u32_f32_e32 v1, v1
	v_mul_lo_u32 v2, s0, v1
	s_mov_b32 s0, 0
	s_delay_alu instid0(VALU_DEP_1) | instskip(NEXT) | instid1(VALU_DEP_1)
	v_mul_hi_u32 v2, v1, v2
	v_add_nc_u32_e32 v2, v1, v2
	v_lshlrev_b32_e32 v1, 1, v0
.LBB3_6:                                ; =>This Inner Loop Header: Depth=1
	v_sub_nc_u32_e32 v3, 0, v0
	v_ashrrev_i32_e32 v4, 31, v0
	s_delay_alu instid0(VALU_DEP_2) | instskip(NEXT) | instid1(VALU_DEP_2)
	v_max_i32_e32 v3, v0, v3
	v_xor_b32_e32 v4, s3, v4
	s_delay_alu instid0(VALU_DEP_2) | instskip(NEXT) | instid1(VALU_DEP_1)
	v_mul_hi_u32 v5, v3, v2
	v_mul_lo_u32 v6, v5, s7
	v_add_nc_u32_e32 v7, 1, v5
	s_delay_alu instid0(VALU_DEP_2) | instskip(NEXT) | instid1(VALU_DEP_1)
	v_sub_nc_u32_e32 v3, v3, v6
	v_subrev_nc_u32_e32 v6, s7, v3
	v_cmp_le_u32_e32 vcc_lo, s7, v3
	s_delay_alu instid0(VALU_DEP_4) | instskip(NEXT) | instid1(VALU_DEP_1)
	v_cndmask_b32_e32 v5, v5, v7, vcc_lo
	v_dual_cndmask_b32 v3, v3, v6 :: v_dual_add_nc_u32 v6, 1, v5
	s_delay_alu instid0(VALU_DEP_1) | instskip(NEXT) | instid1(VALU_DEP_2)
	v_cmp_le_u32_e32 vcc_lo, s7, v3
	v_cndmask_b32_e32 v3, v5, v6, vcc_lo
	s_delay_alu instid0(VALU_DEP_1) | instskip(NEXT) | instid1(VALU_DEP_1)
	v_xor_b32_e32 v3, v3, v4
	v_sub_nc_u32_e32 v9, v3, v4
	s_delay_alu instid0(VALU_DEP_1)
	v_ashrrev_i32_e32 v10, 31, v9
	v_mad_u64_u32 v[3:4], null, s2, v9, v[0:1]
	v_mul_lo_u32 v11, v9, s9
	v_mad_u64_u32 v[5:6], null, v9, s8, 0
	v_mad_u64_u32 v[7:8], null, s11, v9, v[1:2]
	v_mul_lo_u32 v9, v10, s8
	v_ashrrev_i32_e32 v4, 31, v3
	v_add_nc_u32_e32 v0, s1, v0
	v_add_nc_u32_e32 v1, s12, v1
	s_delay_alu instid0(VALU_DEP_3) | instskip(SKIP_2) | instid1(VALU_DEP_3)
	v_lshlrev_b64 v[3:4], 1, v[3:4]
	v_ashrrev_i32_e32 v8, 31, v7
	v_add3_u32 v6, v6, v11, v9
	v_add_co_u32 v9, vcc_lo, s14, v3
	s_delay_alu instid0(VALU_DEP_2) | instskip(NEXT) | instid1(VALU_DEP_4)
	v_lshlrev_b64 v[5:6], 1, v[5:6]
	v_lshlrev_b64 v[7:8], 1, v[7:8]
	v_add_co_ci_u32_e32 v10, vcc_lo, s15, v4, vcc_lo
	s_delay_alu instid0(VALU_DEP_3) | instskip(NEXT) | instid1(VALU_DEP_4)
	v_add_co_u32 v5, vcc_lo, s5, v5
	v_add_co_ci_u32_e32 v6, vcc_lo, s6, v6, vcc_lo
	s_delay_alu instid0(VALU_DEP_2) | instskip(NEXT) | instid1(VALU_DEP_2)
	v_add_co_u32 v5, vcc_lo, v5, v7
	v_add_co_ci_u32_e32 v6, vcc_lo, v6, v8, vcc_lo
	v_add_co_u32 v3, vcc_lo, s10, v3
	v_add_co_ci_u32_e32 v4, vcc_lo, s18, v4, vcc_lo
	global_load_b32 v7, v[5:6], off
	s_clause 0x1
	global_load_u16 v3, v[3:4], off
	global_load_u16 v4, v[9:10], off
	v_cmp_le_i32_e32 vcc_lo, s4, v0
	s_or_b32 s0, vcc_lo, s0
	s_waitcnt vmcnt(2)
	v_lshrrev_b32_e32 v8, 16, v7
	s_waitcnt vmcnt(1)
	s_delay_alu instid0(VALU_DEP_1) | instskip(SKIP_2) | instid1(VALU_DEP_2)
	v_mul_f16_e32 v9, v3, v8
	s_waitcnt vmcnt(0)
	v_mul_f16_e32 v8, v4, v8
	v_fma_f16 v4, v4, v7, -v9
	s_delay_alu instid0(VALU_DEP_2) | instskip(NEXT) | instid1(VALU_DEP_1)
	v_fmac_f16_e32 v8, v3, v7
	v_pack_b32_f16 v3, v4, v8
	global_store_b32 v[5:6], v3, off
	s_and_not1_b32 exec_lo, exec_lo, s0
	s_cbranch_execnz .LBB3_6
.LBB3_7:
	s_nop 0
	s_sendmsg sendmsg(MSG_DEALLOC_VGPRS)
	s_endpgm
	.section	.rodata,"a",@progbits
	.p2align	6, 0x0
	.amdhsa_kernel _ZN4vllm23rotary_embedding_kernelIN3c104HalfELb0EEEvPKlPT_S6_PKS5_illliii
		.amdhsa_group_segment_fixed_size 0
		.amdhsa_private_segment_fixed_size 0
		.amdhsa_kernarg_size 336
		.amdhsa_user_sgpr_count 15
		.amdhsa_user_sgpr_dispatch_ptr 0
		.amdhsa_user_sgpr_queue_ptr 0
		.amdhsa_user_sgpr_kernarg_segment_ptr 1
		.amdhsa_user_sgpr_dispatch_id 0
		.amdhsa_user_sgpr_private_segment_size 0
		.amdhsa_wavefront_size32 1
		.amdhsa_uses_dynamic_stack 0
		.amdhsa_enable_private_segment 0
		.amdhsa_system_sgpr_workgroup_id_x 1
		.amdhsa_system_sgpr_workgroup_id_y 0
		.amdhsa_system_sgpr_workgroup_id_z 0
		.amdhsa_system_sgpr_workgroup_info 0
		.amdhsa_system_vgpr_workitem_id 0
		.amdhsa_next_free_vgpr 13
		.amdhsa_next_free_sgpr 27
		.amdhsa_reserve_vcc 1
		.amdhsa_float_round_mode_32 0
		.amdhsa_float_round_mode_16_64 0
		.amdhsa_float_denorm_mode_32 3
		.amdhsa_float_denorm_mode_16_64 3
		.amdhsa_dx10_clamp 1
		.amdhsa_ieee_mode 1
		.amdhsa_fp16_overflow 0
		.amdhsa_workgroup_processor_mode 1
		.amdhsa_memory_ordered 1
		.amdhsa_forward_progress 0
		.amdhsa_shared_vgpr_count 0
		.amdhsa_exception_fp_ieee_invalid_op 0
		.amdhsa_exception_fp_denorm_src 0
		.amdhsa_exception_fp_ieee_div_zero 0
		.amdhsa_exception_fp_ieee_overflow 0
		.amdhsa_exception_fp_ieee_underflow 0
		.amdhsa_exception_fp_ieee_inexact 0
		.amdhsa_exception_int_div_zero 0
	.end_amdhsa_kernel
	.section	.text._ZN4vllm23rotary_embedding_kernelIN3c104HalfELb0EEEvPKlPT_S6_PKS5_illliii,"axG",@progbits,_ZN4vllm23rotary_embedding_kernelIN3c104HalfELb0EEEvPKlPT_S6_PKS5_illliii,comdat
.Lfunc_end3:
	.size	_ZN4vllm23rotary_embedding_kernelIN3c104HalfELb0EEEvPKlPT_S6_PKS5_illliii, .Lfunc_end3-_ZN4vllm23rotary_embedding_kernelIN3c104HalfELb0EEEvPKlPT_S6_PKS5_illliii
                                        ; -- End function
	.section	.AMDGPU.csdata,"",@progbits
; Kernel info:
; codeLenInByte = 1248
; NumSgprs: 29
; NumVgprs: 13
; ScratchSize: 0
; MemoryBound: 0
; FloatMode: 240
; IeeeMode: 1
; LDSByteSize: 0 bytes/workgroup (compile time only)
; SGPRBlocks: 3
; VGPRBlocks: 1
; NumSGPRsForWavesPerEU: 29
; NumVGPRsForWavesPerEU: 13
; Occupancy: 16
; WaveLimiterHint : 1
; COMPUTE_PGM_RSRC2:SCRATCH_EN: 0
; COMPUTE_PGM_RSRC2:USER_SGPR: 15
; COMPUTE_PGM_RSRC2:TRAP_HANDLER: 0
; COMPUTE_PGM_RSRC2:TGID_X_EN: 1
; COMPUTE_PGM_RSRC2:TGID_Y_EN: 0
; COMPUTE_PGM_RSRC2:TGID_Z_EN: 0
; COMPUTE_PGM_RSRC2:TIDIG_COMP_CNT: 0
	.section	.text._ZN4vllm23rotary_embedding_kernelIN3c108BFloat16ELb1EEEvPKlPT_S6_PKS5_illliii,"axG",@progbits,_ZN4vllm23rotary_embedding_kernelIN3c108BFloat16ELb1EEEvPKlPT_S6_PKS5_illliii,comdat
	.protected	_ZN4vllm23rotary_embedding_kernelIN3c108BFloat16ELb1EEEvPKlPT_S6_PKS5_illliii ; -- Begin function _ZN4vllm23rotary_embedding_kernelIN3c108BFloat16ELb1EEEvPKlPT_S6_PKS5_illliii
	.globl	_ZN4vllm23rotary_embedding_kernelIN3c108BFloat16ELb1EEEvPKlPT_S6_PKS5_illliii
	.p2align	8
	.type	_ZN4vllm23rotary_embedding_kernelIN3c108BFloat16ELb1EEEvPKlPT_S6_PKS5_illliii,@function
_ZN4vllm23rotary_embedding_kernelIN3c108BFloat16ELb1EEEvPKlPT_S6_PKS5_illliii: ; @_ZN4vllm23rotary_embedding_kernelIN3c108BFloat16ELb1EEEvPKlPT_S6_PKS5_illliii
; %bb.0:
	s_clause 0x1
	s_load_b32 s18, s[0:1], 0x20
	s_load_b64 s[2:3], s[0:1], 0x0
	s_mov_b32 s16, s15
	s_ashr_i32 s17, s15, 31
	s_load_b128 s[12:15], s[0:1], 0x10
	s_lshl_b64 s[4:5], s[16:17], 3
	s_mov_b32 s23, exec_lo
	s_waitcnt lgkmcnt(0)
	s_ashr_i32 s19, s18, 31
	s_add_u32 s2, s2, s4
	s_addc_u32 s3, s3, s5
	s_load_b64 s[2:3], s[2:3], 0x0
	s_load_b256 s[4:11], s[0:1], 0x28
	s_waitcnt lgkmcnt(0)
	s_mul_i32 s19, s2, s19
	s_mul_hi_u32 s20, s2, s18
	s_mul_i32 s3, s3, s18
	s_add_i32 s19, s20, s19
	s_mul_i32 s2, s2, s18
	s_add_i32 s3, s19, s3
	s_delay_alu instid0(SALU_CYCLE_1) | instskip(NEXT) | instid1(SALU_CYCLE_1)
	s_lshl_b64 s[2:3], s[2:3], 1
	s_add_u32 s20, s14, s2
	s_addc_u32 s21, s15, s3
	s_lshr_b32 s2, s18, 31
	s_delay_alu instid0(SALU_CYCLE_1) | instskip(NEXT) | instid1(SALU_CYCLE_1)
	s_add_i32 s18, s18, s2
	s_ashr_i32 s18, s18, 1
	s_delay_alu instid0(SALU_CYCLE_1) | instskip(SKIP_2) | instid1(SALU_CYCLE_1)
	s_ashr_i32 s19, s18, 31
	s_mul_i32 s22, s18, s10
	s_lshl_b64 s[14:15], s[18:19], 1
	s_add_u32 s10, s20, s14
	s_addc_u32 s19, s21, s15
	v_cmpx_gt_i32_e64 s22, v0
	s_cbranch_execz .LBB4_3
; %bb.1:
	s_load_b64 s[2:3], s[0:1], 0x8
	s_mul_i32 s5, s16, s5
	s_mul_hi_u32 s24, s16, s4
	s_mul_i32 s25, s17, s4
	s_add_i32 s5, s24, s5
	s_mul_i32 s4, s16, s4
	s_add_i32 s5, s5, s25
	s_load_b32 s25, s[0:1], 0x5c
	s_lshl_b64 s[4:5], s[4:5], 1
	s_mov_b32 s27, 0
	s_waitcnt lgkmcnt(0)
	s_add_u32 s4, s2, s4
	s_addc_u32 s5, s3, s5
	s_abs_i32 s24, s18
	s_ashr_i32 s26, s18, 31
	v_cvt_f32_u32_e32 v1, s24
	s_sub_i32 s2, 0, s24
	s_sub_i32 s28, 0, s18
	s_and_b32 s25, s25, 0xffff
	s_delay_alu instid0(VALU_DEP_1) | instskip(SKIP_2) | instid1(VALU_DEP_1)
	v_rcp_iflag_f32_e32 v1, v1
	s_waitcnt_depctr 0xfff
	v_mul_f32_e32 v1, 0x4f7ffffe, v1
	v_cvt_u32_f32_e32 v1, v1
	s_delay_alu instid0(VALU_DEP_1) | instskip(NEXT) | instid1(VALU_DEP_1)
	v_mul_lo_u32 v2, s2, v1
	v_mul_hi_u32 v2, v1, v2
	s_delay_alu instid0(VALU_DEP_1)
	v_dual_mov_b32 v1, v0 :: v_dual_add_nc_u32 v2, v1, v2
.LBB4_2:                                ; =>This Inner Loop Header: Depth=1
	s_delay_alu instid0(VALU_DEP_1) | instskip(SKIP_1) | instid1(VALU_DEP_2)
	v_sub_nc_u32_e32 v3, 0, v1
	v_ashrrev_i32_e32 v4, 31, v1
	v_max_i32_e32 v3, v1, v3
	s_delay_alu instid0(VALU_DEP_2) | instskip(NEXT) | instid1(VALU_DEP_2)
	v_xor_b32_e32 v4, s26, v4
	v_mul_hi_u32 v5, v3, v2
	s_delay_alu instid0(VALU_DEP_1) | instskip(SKIP_1) | instid1(VALU_DEP_2)
	v_mul_lo_u32 v6, v5, s24
	v_add_nc_u32_e32 v7, 1, v5
	v_sub_nc_u32_e32 v3, v3, v6
	s_delay_alu instid0(VALU_DEP_1) | instskip(SKIP_1) | instid1(VALU_DEP_4)
	v_subrev_nc_u32_e32 v6, s24, v3
	v_cmp_le_u32_e32 vcc_lo, s24, v3
	v_cndmask_b32_e32 v5, v5, v7, vcc_lo
	s_delay_alu instid0(VALU_DEP_1) | instskip(NEXT) | instid1(VALU_DEP_1)
	v_dual_cndmask_b32 v3, v3, v6 :: v_dual_add_nc_u32 v6, 1, v5
	v_cmp_le_u32_e32 vcc_lo, s24, v3
	s_delay_alu instid0(VALU_DEP_2) | instskip(NEXT) | instid1(VALU_DEP_1)
	v_cndmask_b32_e32 v3, v5, v6, vcc_lo
	v_xor_b32_e32 v3, v3, v4
	s_delay_alu instid0(VALU_DEP_1) | instskip(NEXT) | instid1(VALU_DEP_1)
	v_sub_nc_u32_e32 v7, v3, v4
	v_mad_u64_u32 v[3:4], null, s28, v7, v[1:2]
	v_ashrrev_i32_e32 v8, 31, v7
	v_mul_lo_u32 v9, v7, s9
	v_mad_u64_u32 v[5:6], null, v7, s8, 0
	v_add_nc_u32_e32 v1, s25, v1
	s_delay_alu instid0(VALU_DEP_4) | instskip(SKIP_1) | instid1(VALU_DEP_1)
	v_mul_lo_u32 v7, v8, s8
	v_ashrrev_i32_e32 v4, 31, v3
	v_lshlrev_b64 v[3:4], 1, v[3:4]
	s_delay_alu instid0(VALU_DEP_3) | instskip(NEXT) | instid1(VALU_DEP_2)
	v_add3_u32 v6, v6, v9, v7
	v_add_co_u32 v7, vcc_lo, s20, v3
	s_delay_alu instid0(VALU_DEP_2) | instskip(NEXT) | instid1(VALU_DEP_4)
	v_lshlrev_b64 v[5:6], 1, v[5:6]
	v_add_co_ci_u32_e32 v8, vcc_lo, s21, v4, vcc_lo
	v_add_co_u32 v9, vcc_lo, s10, v3
	v_add_co_ci_u32_e32 v10, vcc_lo, s19, v4, vcc_lo
	s_delay_alu instid0(VALU_DEP_4)
	v_add_co_u32 v5, vcc_lo, s4, v5
	v_add_co_ci_u32_e32 v6, vcc_lo, s5, v6, vcc_lo
	s_clause 0x1
	global_load_u16 v7, v[7:8], off
	global_load_u16 v8, v[9:10], off
	v_add_co_u32 v3, vcc_lo, v5, v3
	v_add_co_ci_u32_e32 v4, vcc_lo, v6, v4, vcc_lo
	s_delay_alu instid0(VALU_DEP_2) | instskip(NEXT) | instid1(VALU_DEP_2)
	v_add_co_u32 v5, vcc_lo, v3, s14
	v_add_co_ci_u32_e32 v6, vcc_lo, s15, v4, vcc_lo
	s_clause 0x1
	global_load_u16 v9, v[3:4], off
	global_load_u16 v10, v[5:6], off
	s_waitcnt vmcnt(3)
	v_lshlrev_b32_e32 v7, 16, v7
	s_waitcnt vmcnt(2)
	v_lshlrev_b32_e32 v8, 16, v8
	;; [unrolled: 2-line block ×3, first 2 shown]
	s_waitcnt vmcnt(0)
	s_delay_alu instid0(VALU_DEP_1) | instskip(SKIP_1) | instid1(VALU_DEP_2)
	v_dual_mul_f32 v11, v7, v9 :: v_dual_lshlrev_b32 v10, 16, v10
	v_mul_f32_e32 v9, v8, v9
	v_mul_f32_e32 v8, v8, v10
	;; [unrolled: 1-line block ×3, first 2 shown]
	s_delay_alu instid0(VALU_DEP_4) | instskip(NEXT) | instid1(VALU_DEP_4)
	v_bfe_u32 v12, v11, 16, 1
	v_bfe_u32 v10, v9, 16, 1
	s_delay_alu instid0(VALU_DEP_4) | instskip(NEXT) | instid1(VALU_DEP_4)
	v_bfe_u32 v13, v8, 16, 1
	v_bfe_u32 v14, v7, 16, 1
	v_cmp_o_f32_e64 s2, v11, v11
	v_add3_u32 v12, v11, v12, 0x7fff
	v_add3_u32 v10, v9, v10, 0x7fff
	;; [unrolled: 1-line block ×4, first 2 shown]
	s_delay_alu instid0(VALU_DEP_4) | instskip(NEXT) | instid1(VALU_DEP_4)
	v_and_b32_e32 v12, 0xffff0000, v12
	v_and_b32_e32 v10, 0xffff0000, v10
	v_cmp_o_f32_e32 vcc_lo, v9, v9
	v_and_b32_e32 v9, 0xffff0000, v13
	s_delay_alu instid0(VALU_DEP_4) | instskip(SKIP_3) | instid1(VALU_DEP_3)
	v_cndmask_b32_e64 v11, 0x7fc00000, v12, s2
	v_cmp_o_f32_e64 s2, v8, v8
	v_cndmask_b32_e32 v10, 0x7fc00000, v10, vcc_lo
	v_cmp_o_f32_e32 vcc_lo, v7, v7
	v_cndmask_b32_e64 v7, 0x7fc00000, v9, s2
	s_delay_alu instid0(VALU_DEP_1) | instskip(NEXT) | instid1(VALU_DEP_1)
	v_dual_sub_f32 v7, v11, v7 :: v_dual_and_b32 v12, 0xffff0000, v14
	v_cndmask_b32_e32 v8, 0x7fc00000, v12, vcc_lo
	v_cmp_le_i32_e32 vcc_lo, s22, v1
	s_delay_alu instid0(VALU_DEP_3) | instskip(NEXT) | instid1(VALU_DEP_3)
	v_bfe_u32 v9, v7, 16, 1
	v_add_f32_e32 v8, v10, v8
	v_cmp_o_f32_e64 s3, v7, v7
	s_or_b32 s27, vcc_lo, s27
	s_delay_alu instid0(VALU_DEP_3) | instskip(NEXT) | instid1(VALU_DEP_3)
	v_add3_u32 v9, v7, v9, 0x7fff
	v_bfe_u32 v10, v8, 16, 1
	v_cmp_o_f32_e64 s2, v8, v8
	s_delay_alu instid0(VALU_DEP_3) | instskip(NEXT) | instid1(VALU_DEP_3)
	v_lshrrev_b32_e32 v9, 16, v9
	v_add3_u32 v10, v8, v10, 0x7fff
	s_delay_alu instid0(VALU_DEP_2) | instskip(NEXT) | instid1(VALU_DEP_2)
	v_cndmask_b32_e64 v7, 0x7fc0, v9, s3
	v_lshrrev_b32_e32 v10, 16, v10
	s_delay_alu instid0(VALU_DEP_1)
	v_cndmask_b32_e64 v8, 0x7fc0, v10, s2
	s_clause 0x1
	global_store_b16 v[3:4], v7, off
	global_store_b16 v[5:6], v8, off
	s_and_not1_b32 exec_lo, exec_lo, s27
	s_cbranch_execnz .LBB4_2
.LBB4_3:
	s_or_b32 exec_lo, exec_lo, s23
	s_cmp_lg_u64 s[12:13], 0
	s_cbranch_scc0 .LBB4_7
; %bb.4:
	s_mul_i32 s2, s18, s11
	s_mov_b32 s3, exec_lo
	v_cmpx_gt_i32_e64 s2, v0
	s_cbranch_execz .LBB4_7
; %bb.5:
	s_mul_i32 s3, s16, s7
	s_mul_hi_u32 s4, s16, s6
	s_mul_i32 s5, s17, s6
	s_add_i32 s3, s4, s3
	s_mul_i32 s4, s16, s6
	s_add_i32 s5, s3, s5
	s_load_b32 s0, s[0:1], 0x5c
	s_lshl_b64 s[4:5], s[4:5], 1
	s_mov_b32 s11, 0
	s_add_u32 s3, s12, s4
	s_addc_u32 s4, s13, s5
	s_abs_i32 s5, s18
	s_ashr_i32 s7, s18, 31
	v_cvt_f32_u32_e32 v1, s5
	s_sub_i32 s1, 0, s5
	s_sub_i32 s12, 0, s18
	s_delay_alu instid0(VALU_DEP_1) | instskip(SKIP_4) | instid1(VALU_DEP_1)
	v_rcp_iflag_f32_e32 v1, v1
	s_waitcnt lgkmcnt(0)
	s_and_b32 s6, s0, 0xffff
	s_waitcnt_depctr 0xfff
	v_mul_f32_e32 v1, 0x4f7ffffe, v1
	v_cvt_u32_f32_e32 v1, v1
	s_delay_alu instid0(VALU_DEP_1) | instskip(NEXT) | instid1(VALU_DEP_1)
	v_mul_lo_u32 v2, s1, v1
	v_mul_hi_u32 v2, v1, v2
	s_delay_alu instid0(VALU_DEP_1)
	v_add_nc_u32_e32 v1, v1, v2
.LBB4_6:                                ; =>This Inner Loop Header: Depth=1
	v_sub_nc_u32_e32 v2, 0, v0
	v_ashrrev_i32_e32 v3, 31, v0
	s_delay_alu instid0(VALU_DEP_2) | instskip(NEXT) | instid1(VALU_DEP_2)
	v_max_i32_e32 v2, v0, v2
	v_xor_b32_e32 v3, s7, v3
	s_delay_alu instid0(VALU_DEP_2) | instskip(NEXT) | instid1(VALU_DEP_1)
	v_mul_hi_u32 v4, v2, v1
	v_mul_lo_u32 v5, v4, s5
	v_add_nc_u32_e32 v6, 1, v4
	s_delay_alu instid0(VALU_DEP_2) | instskip(NEXT) | instid1(VALU_DEP_1)
	v_sub_nc_u32_e32 v2, v2, v5
	v_subrev_nc_u32_e32 v5, s5, v2
	v_cmp_le_u32_e32 vcc_lo, s5, v2
	s_delay_alu instid0(VALU_DEP_4) | instskip(NEXT) | instid1(VALU_DEP_1)
	v_cndmask_b32_e32 v4, v4, v6, vcc_lo
	v_dual_cndmask_b32 v2, v2, v5 :: v_dual_add_nc_u32 v5, 1, v4
	s_delay_alu instid0(VALU_DEP_1) | instskip(NEXT) | instid1(VALU_DEP_2)
	v_cmp_le_u32_e32 vcc_lo, s5, v2
	v_cndmask_b32_e32 v2, v4, v5, vcc_lo
	s_delay_alu instid0(VALU_DEP_1) | instskip(NEXT) | instid1(VALU_DEP_1)
	v_xor_b32_e32 v2, v2, v3
	v_sub_nc_u32_e32 v6, v2, v3
	s_delay_alu instid0(VALU_DEP_1) | instskip(SKIP_4) | instid1(VALU_DEP_4)
	v_mad_u64_u32 v[2:3], null, s12, v6, v[0:1]
	v_ashrrev_i32_e32 v7, 31, v6
	v_mul_lo_u32 v8, v6, s9
	v_mad_u64_u32 v[4:5], null, v6, s8, 0
	v_add_nc_u32_e32 v0, s6, v0
	v_mul_lo_u32 v6, v7, s8
	v_ashrrev_i32_e32 v3, 31, v2
	s_delay_alu instid0(VALU_DEP_1) | instskip(NEXT) | instid1(VALU_DEP_3)
	v_lshlrev_b64 v[2:3], 1, v[2:3]
	v_add3_u32 v5, v5, v8, v6
	s_delay_alu instid0(VALU_DEP_2) | instskip(NEXT) | instid1(VALU_DEP_2)
	v_add_co_u32 v6, vcc_lo, s20, v2
	v_lshlrev_b64 v[4:5], 1, v[4:5]
	s_delay_alu instid0(VALU_DEP_4) | instskip(SKIP_2) | instid1(VALU_DEP_4)
	v_add_co_ci_u32_e32 v7, vcc_lo, s21, v3, vcc_lo
	v_add_co_u32 v8, vcc_lo, s10, v2
	v_add_co_ci_u32_e32 v9, vcc_lo, s19, v3, vcc_lo
	v_add_co_u32 v4, vcc_lo, s3, v4
	v_add_co_ci_u32_e32 v5, vcc_lo, s4, v5, vcc_lo
	s_clause 0x1
	global_load_u16 v6, v[6:7], off
	global_load_u16 v7, v[8:9], off
	v_add_co_u32 v2, vcc_lo, v4, v2
	v_add_co_ci_u32_e32 v3, vcc_lo, v5, v3, vcc_lo
	s_delay_alu instid0(VALU_DEP_2) | instskip(NEXT) | instid1(VALU_DEP_2)
	v_add_co_u32 v4, vcc_lo, v2, s14
	v_add_co_ci_u32_e32 v5, vcc_lo, s15, v3, vcc_lo
	s_clause 0x1
	global_load_u16 v8, v[2:3], off
	global_load_u16 v9, v[4:5], off
	s_waitcnt vmcnt(3)
	v_lshlrev_b32_e32 v6, 16, v6
	s_waitcnt vmcnt(2)
	v_lshlrev_b32_e32 v7, 16, v7
	;; [unrolled: 2-line block ×3, first 2 shown]
	s_waitcnt vmcnt(0)
	s_delay_alu instid0(VALU_DEP_1) | instskip(SKIP_1) | instid1(VALU_DEP_2)
	v_dual_mul_f32 v10, v6, v8 :: v_dual_lshlrev_b32 v9, 16, v9
	v_mul_f32_e32 v8, v7, v8
	v_mul_f32_e32 v7, v7, v9
	;; [unrolled: 1-line block ×3, first 2 shown]
	s_delay_alu instid0(VALU_DEP_4) | instskip(NEXT) | instid1(VALU_DEP_4)
	v_bfe_u32 v11, v10, 16, 1
	v_bfe_u32 v9, v8, 16, 1
	s_delay_alu instid0(VALU_DEP_4) | instskip(NEXT) | instid1(VALU_DEP_4)
	v_bfe_u32 v12, v7, 16, 1
	v_bfe_u32 v13, v6, 16, 1
	v_cmp_o_f32_e64 s0, v10, v10
	v_add3_u32 v11, v10, v11, 0x7fff
	v_add3_u32 v9, v8, v9, 0x7fff
	;; [unrolled: 1-line block ×4, first 2 shown]
	s_delay_alu instid0(VALU_DEP_4) | instskip(NEXT) | instid1(VALU_DEP_4)
	v_and_b32_e32 v11, 0xffff0000, v11
	v_and_b32_e32 v9, 0xffff0000, v9
	v_cmp_o_f32_e32 vcc_lo, v8, v8
	v_and_b32_e32 v8, 0xffff0000, v12
	s_delay_alu instid0(VALU_DEP_4) | instskip(SKIP_3) | instid1(VALU_DEP_3)
	v_cndmask_b32_e64 v10, 0x7fc00000, v11, s0
	v_cmp_o_f32_e64 s0, v7, v7
	v_cndmask_b32_e32 v9, 0x7fc00000, v9, vcc_lo
	v_cmp_o_f32_e32 vcc_lo, v6, v6
	v_cndmask_b32_e64 v6, 0x7fc00000, v8, s0
	s_delay_alu instid0(VALU_DEP_1) | instskip(NEXT) | instid1(VALU_DEP_1)
	v_dual_sub_f32 v6, v10, v6 :: v_dual_and_b32 v11, 0xffff0000, v13
	v_cndmask_b32_e32 v7, 0x7fc00000, v11, vcc_lo
	v_cmp_le_i32_e32 vcc_lo, s2, v0
	s_delay_alu instid0(VALU_DEP_3) | instskip(NEXT) | instid1(VALU_DEP_3)
	v_bfe_u32 v8, v6, 16, 1
	v_add_f32_e32 v7, v9, v7
	v_cmp_o_f32_e64 s1, v6, v6
	s_or_b32 s11, vcc_lo, s11
	s_delay_alu instid0(VALU_DEP_3) | instskip(NEXT) | instid1(VALU_DEP_3)
	v_add3_u32 v8, v6, v8, 0x7fff
	v_bfe_u32 v9, v7, 16, 1
	v_cmp_o_f32_e64 s0, v7, v7
	s_delay_alu instid0(VALU_DEP_3) | instskip(NEXT) | instid1(VALU_DEP_3)
	v_lshrrev_b32_e32 v8, 16, v8
	v_add3_u32 v9, v7, v9, 0x7fff
	s_delay_alu instid0(VALU_DEP_2) | instskip(NEXT) | instid1(VALU_DEP_2)
	v_cndmask_b32_e64 v6, 0x7fc0, v8, s1
	v_lshrrev_b32_e32 v9, 16, v9
	s_delay_alu instid0(VALU_DEP_1)
	v_cndmask_b32_e64 v7, 0x7fc0, v9, s0
	s_clause 0x1
	global_store_b16 v[2:3], v6, off
	global_store_b16 v[4:5], v7, off
	s_and_not1_b32 exec_lo, exec_lo, s11
	s_cbranch_execnz .LBB4_6
.LBB4_7:
	s_nop 0
	s_sendmsg sendmsg(MSG_DEALLOC_VGPRS)
	s_endpgm
	.section	.rodata,"a",@progbits
	.p2align	6, 0x0
	.amdhsa_kernel _ZN4vllm23rotary_embedding_kernelIN3c108BFloat16ELb1EEEvPKlPT_S6_PKS5_illliii
		.amdhsa_group_segment_fixed_size 0
		.amdhsa_private_segment_fixed_size 0
		.amdhsa_kernarg_size 336
		.amdhsa_user_sgpr_count 15
		.amdhsa_user_sgpr_dispatch_ptr 0
		.amdhsa_user_sgpr_queue_ptr 0
		.amdhsa_user_sgpr_kernarg_segment_ptr 1
		.amdhsa_user_sgpr_dispatch_id 0
		.amdhsa_user_sgpr_private_segment_size 0
		.amdhsa_wavefront_size32 1
		.amdhsa_uses_dynamic_stack 0
		.amdhsa_enable_private_segment 0
		.amdhsa_system_sgpr_workgroup_id_x 1
		.amdhsa_system_sgpr_workgroup_id_y 0
		.amdhsa_system_sgpr_workgroup_id_z 0
		.amdhsa_system_sgpr_workgroup_info 0
		.amdhsa_system_vgpr_workitem_id 0
		.amdhsa_next_free_vgpr 15
		.amdhsa_next_free_sgpr 29
		.amdhsa_reserve_vcc 1
		.amdhsa_float_round_mode_32 0
		.amdhsa_float_round_mode_16_64 0
		.amdhsa_float_denorm_mode_32 3
		.amdhsa_float_denorm_mode_16_64 3
		.amdhsa_dx10_clamp 1
		.amdhsa_ieee_mode 1
		.amdhsa_fp16_overflow 0
		.amdhsa_workgroup_processor_mode 1
		.amdhsa_memory_ordered 1
		.amdhsa_forward_progress 0
		.amdhsa_shared_vgpr_count 0
		.amdhsa_exception_fp_ieee_invalid_op 0
		.amdhsa_exception_fp_denorm_src 0
		.amdhsa_exception_fp_ieee_div_zero 0
		.amdhsa_exception_fp_ieee_overflow 0
		.amdhsa_exception_fp_ieee_underflow 0
		.amdhsa_exception_fp_ieee_inexact 0
		.amdhsa_exception_int_div_zero 0
	.end_amdhsa_kernel
	.section	.text._ZN4vllm23rotary_embedding_kernelIN3c108BFloat16ELb1EEEvPKlPT_S6_PKS5_illliii,"axG",@progbits,_ZN4vllm23rotary_embedding_kernelIN3c108BFloat16ELb1EEEvPKlPT_S6_PKS5_illliii,comdat
.Lfunc_end4:
	.size	_ZN4vllm23rotary_embedding_kernelIN3c108BFloat16ELb1EEEvPKlPT_S6_PKS5_illliii, .Lfunc_end4-_ZN4vllm23rotary_embedding_kernelIN3c108BFloat16ELb1EEEvPKlPT_S6_PKS5_illliii
                                        ; -- End function
	.section	.AMDGPU.csdata,"",@progbits
; Kernel info:
; codeLenInByte = 1872
; NumSgprs: 31
; NumVgprs: 15
; ScratchSize: 0
; MemoryBound: 0
; FloatMode: 240
; IeeeMode: 1
; LDSByteSize: 0 bytes/workgroup (compile time only)
; SGPRBlocks: 3
; VGPRBlocks: 1
; NumSGPRsForWavesPerEU: 31
; NumVGPRsForWavesPerEU: 15
; Occupancy: 16
; WaveLimiterHint : 1
; COMPUTE_PGM_RSRC2:SCRATCH_EN: 0
; COMPUTE_PGM_RSRC2:USER_SGPR: 15
; COMPUTE_PGM_RSRC2:TRAP_HANDLER: 0
; COMPUTE_PGM_RSRC2:TGID_X_EN: 1
; COMPUTE_PGM_RSRC2:TGID_Y_EN: 0
; COMPUTE_PGM_RSRC2:TGID_Z_EN: 0
; COMPUTE_PGM_RSRC2:TIDIG_COMP_CNT: 0
	.section	.text._ZN4vllm23rotary_embedding_kernelIN3c108BFloat16ELb0EEEvPKlPT_S6_PKS5_illliii,"axG",@progbits,_ZN4vllm23rotary_embedding_kernelIN3c108BFloat16ELb0EEEvPKlPT_S6_PKS5_illliii,comdat
	.protected	_ZN4vllm23rotary_embedding_kernelIN3c108BFloat16ELb0EEEvPKlPT_S6_PKS5_illliii ; -- Begin function _ZN4vllm23rotary_embedding_kernelIN3c108BFloat16ELb0EEEvPKlPT_S6_PKS5_illliii
	.globl	_ZN4vllm23rotary_embedding_kernelIN3c108BFloat16ELb0EEEvPKlPT_S6_PKS5_illliii
	.p2align	8
	.type	_ZN4vllm23rotary_embedding_kernelIN3c108BFloat16ELb0EEEvPKlPT_S6_PKS5_illliii,@function
_ZN4vllm23rotary_embedding_kernelIN3c108BFloat16ELb0EEEvPKlPT_S6_PKS5_illliii: ; @_ZN4vllm23rotary_embedding_kernelIN3c108BFloat16ELb0EEEvPKlPT_S6_PKS5_illliii
; %bb.0:
	s_clause 0x1
	s_load_b32 s20, s[0:1], 0x20
	s_load_b64 s[2:3], s[0:1], 0x0
	s_mov_b32 s16, s15
	s_ashr_i32 s17, s15, 31
	s_load_b128 s[12:15], s[0:1], 0x10
	s_lshl_b64 s[4:5], s[16:17], 3
	s_mov_b32 s22, exec_lo
	s_waitcnt lgkmcnt(0)
	s_ashr_i32 s18, s20, 31
	s_add_u32 s2, s2, s4
	s_addc_u32 s3, s3, s5
	s_load_b64 s[2:3], s[2:3], 0x0
	s_load_b256 s[4:11], s[0:1], 0x28
	s_waitcnt lgkmcnt(0)
	s_mul_i32 s18, s2, s18
	s_mul_hi_u32 s19, s2, s20
	s_mul_i32 s3, s3, s20
	s_add_i32 s18, s19, s18
	s_mul_i32 s2, s2, s20
	s_add_i32 s3, s18, s3
	s_delay_alu instid0(SALU_CYCLE_1) | instskip(NEXT) | instid1(SALU_CYCLE_1)
	s_lshl_b64 s[2:3], s[2:3], 1
	s_add_u32 s18, s14, s2
	s_addc_u32 s19, s15, s3
	s_lshr_b32 s2, s20, 31
	s_delay_alu instid0(SALU_CYCLE_1) | instskip(NEXT) | instid1(SALU_CYCLE_1)
	s_add_i32 s20, s20, s2
	s_ashr_i32 s14, s20, 1
	s_delay_alu instid0(SALU_CYCLE_1) | instskip(SKIP_2) | instid1(SALU_CYCLE_1)
	s_ashr_i32 s15, s14, 31
	s_mul_i32 s21, s14, s10
	s_lshl_b64 s[2:3], s[14:15], 1
	s_add_u32 s10, s18, s2
	s_addc_u32 s20, s19, s3
	v_cmpx_gt_i32_e64 s21, v0
	s_cbranch_execz .LBB5_3
; %bb.1:
	s_load_b64 s[2:3], s[0:1], 0x8
	s_mul_i32 s5, s16, s5
	s_mul_hi_u32 s23, s16, s4
	s_mul_i32 s24, s17, s4
	s_add_i32 s5, s23, s5
	s_mul_i32 s4, s16, s4
	s_add_i32 s5, s5, s24
	s_delay_alu instid0(SALU_CYCLE_1)
	s_lshl_b64 s[24:25], s[4:5], 1
	s_load_b32 s4, s[0:1], 0x5c
	s_waitcnt lgkmcnt(0)
	s_add_u32 s5, s2, s24
	s_addc_u32 s23, s3, s25
	s_abs_i32 s24, s14
	s_mov_b32 s25, 0
	v_cvt_f32_u32_e32 v1, s24
	s_sub_i32 s2, 0, s24
	s_sub_i32 s29, 0, s14
	s_and_b32 s26, s4, 0xffff
	s_delay_alu instid0(VALU_DEP_1) | instskip(SKIP_3) | instid1(VALU_DEP_1)
	v_rcp_iflag_f32_e32 v1, v1
	s_lshl_b32 s28, s26, 1
	s_waitcnt_depctr 0xfff
	v_mul_f32_e32 v1, 0x4f7ffffe, v1
	v_cvt_u32_f32_e32 v2, v1
	s_delay_alu instid0(VALU_DEP_1) | instskip(SKIP_1) | instid1(SALU_CYCLE_1)
	v_mul_lo_u32 v1, s2, v2
	s_lshl_b32 s2, s14, 1
	s_sub_i32 s27, 0, s2
	s_delay_alu instid0(VALU_DEP_1) | instskip(SKIP_1) | instid1(VALU_DEP_2)
	v_mul_hi_u32 v3, v2, v1
	v_lshlrev_b32_e32 v1, 1, v0
	v_dual_mov_b32 v2, v0 :: v_dual_add_nc_u32 v3, v2, v3
.LBB5_2:                                ; =>This Inner Loop Header: Depth=1
	s_delay_alu instid0(VALU_DEP_1) | instskip(SKIP_1) | instid1(VALU_DEP_2)
	v_sub_nc_u32_e32 v4, 0, v2
	v_ashrrev_i32_e32 v5, 31, v2
	v_max_i32_e32 v4, v2, v4
	s_delay_alu instid0(VALU_DEP_2) | instskip(NEXT) | instid1(VALU_DEP_2)
	v_xor_b32_e32 v5, s15, v5
	v_mul_hi_u32 v6, v4, v3
	s_delay_alu instid0(VALU_DEP_1) | instskip(SKIP_1) | instid1(VALU_DEP_2)
	v_mul_lo_u32 v7, v6, s24
	v_add_nc_u32_e32 v8, 1, v6
	v_sub_nc_u32_e32 v4, v4, v7
	s_delay_alu instid0(VALU_DEP_1) | instskip(SKIP_1) | instid1(VALU_DEP_4)
	v_subrev_nc_u32_e32 v7, s24, v4
	v_cmp_le_u32_e32 vcc_lo, s24, v4
	v_cndmask_b32_e32 v6, v6, v8, vcc_lo
	s_delay_alu instid0(VALU_DEP_1) | instskip(NEXT) | instid1(VALU_DEP_1)
	v_dual_cndmask_b32 v4, v4, v7 :: v_dual_add_nc_u32 v7, 1, v6
	v_cmp_le_u32_e32 vcc_lo, s24, v4
	s_delay_alu instid0(VALU_DEP_2) | instskip(NEXT) | instid1(VALU_DEP_1)
	v_cndmask_b32_e32 v4, v6, v7, vcc_lo
	v_xor_b32_e32 v4, v4, v5
	s_delay_alu instid0(VALU_DEP_1) | instskip(NEXT) | instid1(VALU_DEP_1)
	v_sub_nc_u32_e32 v10, v4, v5
	v_mad_u64_u32 v[4:5], null, s29, v10, v[2:3]
	v_ashrrev_i32_e32 v11, 31, v10
	v_mul_lo_u32 v12, v10, s9
	v_mad_u64_u32 v[6:7], null, v10, s8, 0
	v_mad_u64_u32 v[8:9], null, s27, v10, v[1:2]
	s_delay_alu instid0(VALU_DEP_4) | instskip(SKIP_3) | instid1(VALU_DEP_3)
	v_mul_lo_u32 v10, v11, s8
	v_ashrrev_i32_e32 v5, 31, v4
	v_add_nc_u32_e32 v2, s26, v2
	v_add_nc_u32_e32 v1, s28, v1
	v_lshlrev_b64 v[4:5], 1, v[4:5]
	v_ashrrev_i32_e32 v9, 31, v8
	v_add3_u32 v7, v7, v12, v10
	s_delay_alu instid0(VALU_DEP_3) | instskip(NEXT) | instid1(VALU_DEP_2)
	v_add_co_u32 v10, vcc_lo, s18, v4
	v_lshlrev_b64 v[6:7], 1, v[6:7]
	v_add_co_ci_u32_e32 v11, vcc_lo, s19, v5, vcc_lo
	v_add_co_u32 v4, vcc_lo, s10, v4
	v_lshlrev_b64 v[8:9], 1, v[8:9]
	v_add_co_ci_u32_e32 v5, vcc_lo, s20, v5, vcc_lo
	v_add_co_u32 v6, vcc_lo, s5, v6
	v_add_co_ci_u32_e32 v7, vcc_lo, s23, v7, vcc_lo
	s_clause 0x1
	global_load_u16 v10, v[10:11], off
	global_load_u16 v11, v[4:5], off
	v_add_co_u32 v4, vcc_lo, v6, v8
	v_add_co_ci_u32_e32 v5, vcc_lo, v7, v9, vcc_lo
	global_load_b32 v6, v[4:5], off
	s_waitcnt vmcnt(2)
	v_lshlrev_b32_e32 v7, 16, v10
	s_waitcnt vmcnt(0)
	v_and_b32_e32 v9, 0xffff0000, v6
	v_lshlrev_b32_e32 v6, 16, v6
	v_lshlrev_b32_e32 v8, 16, v11
	s_delay_alu instid0(VALU_DEP_1) | instskip(SKIP_1) | instid1(VALU_DEP_4)
	v_mul_f32_e32 v10, v8, v9
	v_mul_f32_e32 v9, v7, v9
	v_dual_mul_f32 v7, v7, v6 :: v_dual_mul_f32 v6, v6, v8
	s_delay_alu instid0(VALU_DEP_2) | instskip(NEXT) | instid1(VALU_DEP_2)
	v_bfe_u32 v11, v9, 16, 1
	v_bfe_u32 v12, v7, 16, 1
	s_delay_alu instid0(VALU_DEP_3)
	v_bfe_u32 v13, v6, 16, 1
	v_cmp_o_f32_e64 s3, v7, v7
	v_cmp_o_f32_e64 s4, v9, v9
	v_add3_u32 v11, v9, v11, 0x7fff
	v_add3_u32 v12, v7, v12, 0x7fff
	;; [unrolled: 1-line block ×3, first 2 shown]
	s_delay_alu instid0(VALU_DEP_3) | instskip(SKIP_1) | instid1(VALU_DEP_3)
	v_and_b32_e32 v11, 0xffff0000, v11
	v_bfe_u32 v8, v10, 16, 1
	v_and_b32_e32 v13, 0xffff0000, v13
	v_cmp_o_f32_e32 vcc_lo, v10, v10
	v_cmp_o_f32_e64 s2, v6, v6
	v_cndmask_b32_e64 v6, 0x7fc00000, v11, s4
	v_add3_u32 v8, v10, v8, 0x7fff
	s_delay_alu instid0(VALU_DEP_3) | instskip(NEXT) | instid1(VALU_DEP_2)
	v_cndmask_b32_e64 v9, 0x7fc00000, v13, s2
	v_and_b32_e32 v8, 0xffff0000, v8
	s_delay_alu instid0(VALU_DEP_1) | instskip(SKIP_1) | instid1(VALU_DEP_2)
	v_dual_add_f32 v6, v9, v6 :: v_dual_cndmask_b32 v7, 0x7fc00000, v8
	v_and_b32_e32 v12, 0xffff0000, v12
	v_bfe_u32 v9, v6, 16, 1
	v_cmp_o_f32_e32 vcc_lo, v6, v6
	s_delay_alu instid0(VALU_DEP_3) | instskip(NEXT) | instid1(VALU_DEP_3)
	v_cndmask_b32_e64 v8, 0x7fc00000, v12, s3
	v_add3_u32 v9, v6, v9, 0x7fff
	s_delay_alu instid0(VALU_DEP_2) | instskip(NEXT) | instid1(VALU_DEP_2)
	v_sub_f32_e32 v7, v8, v7
	v_lshrrev_b32_e32 v9, 16, v9
	s_delay_alu instid0(VALU_DEP_2) | instskip(SKIP_1) | instid1(VALU_DEP_2)
	v_bfe_u32 v8, v7, 16, 1
	v_cmp_o_f32_e64 s2, v7, v7
	v_add3_u32 v8, v7, v8, 0x7fff
	s_delay_alu instid0(VALU_DEP_4) | instskip(SKIP_1) | instid1(VALU_DEP_3)
	v_cndmask_b32_e32 v7, 0x7fc0, v9, vcc_lo
	v_cmp_le_i32_e32 vcc_lo, s21, v2
	v_lshrrev_b32_e32 v8, 16, v8
	s_or_b32 s25, vcc_lo, s25
	s_delay_alu instid0(VALU_DEP_1) | instskip(NEXT) | instid1(VALU_DEP_1)
	v_cndmask_b32_e64 v6, 0x7fc0, v8, s2
	v_perm_b32 v6, v7, v6, 0x5040100
	global_store_b32 v[4:5], v6, off
	s_and_not1_b32 exec_lo, exec_lo, s25
	s_cbranch_execnz .LBB5_2
.LBB5_3:
	s_or_b32 exec_lo, exec_lo, s22
	s_cmp_lg_u64 s[12:13], 0
	s_cbranch_scc0 .LBB5_7
; %bb.4:
	s_mul_i32 s3, s14, s11
	s_mov_b32 s2, exec_lo
	v_cmpx_gt_i32_e64 s3, v0
	s_cbranch_execz .LBB5_7
; %bb.5:
	s_mul_i32 s2, s16, s7
	s_mul_hi_u32 s4, s16, s6
	s_mul_i32 s5, s17, s6
	s_add_i32 s2, s4, s2
	s_mul_i32 s4, s16, s6
	s_add_i32 s5, s2, s5
	s_load_b32 s0, s[0:1], 0x5c
	s_lshl_b64 s[4:5], s[4:5], 1
	s_mov_b32 s7, 0
	s_add_u32 s4, s12, s4
	s_addc_u32 s5, s13, s5
	s_abs_i32 s6, s14
	s_delay_alu instid0(SALU_CYCLE_1) | instskip(SKIP_1) | instid1(VALU_DEP_1)
	v_cvt_f32_u32_e32 v1, s6
	s_sub_i32 s1, 0, s6
	v_rcp_iflag_f32_e32 v1, v1
	s_waitcnt lgkmcnt(0)
	s_and_b32 s11, s0, 0xffff
	s_waitcnt_depctr 0xfff
	v_mul_f32_e32 v1, 0x4f7ffffe, v1
	s_lshl_b32 s13, s11, 1
	s_delay_alu instid0(VALU_DEP_1) | instskip(NEXT) | instid1(VALU_DEP_1)
	v_cvt_u32_f32_e32 v1, v1
	v_mul_lo_u32 v2, s1, v1
	s_lshl_b32 s1, s14, 1
	s_sub_i32 s14, 0, s14
	s_sub_i32 s12, 0, s1
	s_delay_alu instid0(VALU_DEP_1) | instskip(NEXT) | instid1(VALU_DEP_1)
	v_mul_hi_u32 v2, v1, v2
	v_add_nc_u32_e32 v2, v1, v2
	v_lshlrev_b32_e32 v1, 1, v0
.LBB5_6:                                ; =>This Inner Loop Header: Depth=1
	v_sub_nc_u32_e32 v3, 0, v0
	v_ashrrev_i32_e32 v4, 31, v0
	s_delay_alu instid0(VALU_DEP_2) | instskip(NEXT) | instid1(VALU_DEP_2)
	v_max_i32_e32 v3, v0, v3
	v_xor_b32_e32 v4, s15, v4
	s_delay_alu instid0(VALU_DEP_2) | instskip(NEXT) | instid1(VALU_DEP_1)
	v_mul_hi_u32 v5, v3, v2
	v_mul_lo_u32 v6, v5, s6
	v_add_nc_u32_e32 v7, 1, v5
	s_delay_alu instid0(VALU_DEP_2) | instskip(NEXT) | instid1(VALU_DEP_1)
	v_sub_nc_u32_e32 v3, v3, v6
	v_subrev_nc_u32_e32 v6, s6, v3
	v_cmp_le_u32_e32 vcc_lo, s6, v3
	s_delay_alu instid0(VALU_DEP_4) | instskip(NEXT) | instid1(VALU_DEP_1)
	v_cndmask_b32_e32 v5, v5, v7, vcc_lo
	v_dual_cndmask_b32 v3, v3, v6 :: v_dual_add_nc_u32 v6, 1, v5
	s_delay_alu instid0(VALU_DEP_1) | instskip(NEXT) | instid1(VALU_DEP_2)
	v_cmp_le_u32_e32 vcc_lo, s6, v3
	v_cndmask_b32_e32 v3, v5, v6, vcc_lo
	s_delay_alu instid0(VALU_DEP_1) | instskip(NEXT) | instid1(VALU_DEP_1)
	v_xor_b32_e32 v3, v3, v4
	v_sub_nc_u32_e32 v9, v3, v4
	s_delay_alu instid0(VALU_DEP_1) | instskip(SKIP_4) | instid1(VALU_DEP_4)
	v_mad_u64_u32 v[3:4], null, s14, v9, v[0:1]
	v_ashrrev_i32_e32 v10, 31, v9
	v_mul_lo_u32 v11, v9, s9
	v_mad_u64_u32 v[5:6], null, v9, s8, 0
	v_mad_u64_u32 v[7:8], null, s12, v9, v[1:2]
	v_mul_lo_u32 v9, v10, s8
	v_ashrrev_i32_e32 v4, 31, v3
	v_add_nc_u32_e32 v1, s13, v1
	v_add_nc_u32_e32 v0, s11, v0
	s_delay_alu instid0(VALU_DEP_3) | instskip(SKIP_2) | instid1(VALU_DEP_3)
	v_lshlrev_b64 v[3:4], 1, v[3:4]
	v_ashrrev_i32_e32 v8, 31, v7
	v_add3_u32 v6, v6, v11, v9
	v_add_co_u32 v9, vcc_lo, s18, v3
	s_delay_alu instid0(VALU_DEP_2)
	v_lshlrev_b64 v[5:6], 1, v[5:6]
	v_add_co_ci_u32_e32 v10, vcc_lo, s19, v4, vcc_lo
	v_add_co_u32 v3, vcc_lo, s10, v3
	v_lshlrev_b64 v[7:8], 1, v[7:8]
	v_add_co_ci_u32_e32 v4, vcc_lo, s20, v4, vcc_lo
	v_add_co_u32 v5, vcc_lo, s4, v5
	v_add_co_ci_u32_e32 v6, vcc_lo, s5, v6, vcc_lo
	s_clause 0x1
	global_load_u16 v9, v[9:10], off
	global_load_u16 v10, v[3:4], off
	v_add_co_u32 v3, vcc_lo, v5, v7
	v_add_co_ci_u32_e32 v4, vcc_lo, v6, v8, vcc_lo
	global_load_b32 v5, v[3:4], off
	s_waitcnt vmcnt(2)
	v_lshlrev_b32_e32 v6, 16, v9
	s_waitcnt vmcnt(0)
	v_and_b32_e32 v8, 0xffff0000, v5
	v_lshlrev_b32_e32 v5, 16, v5
	v_lshlrev_b32_e32 v7, 16, v10
	s_delay_alu instid0(VALU_DEP_1) | instskip(SKIP_1) | instid1(VALU_DEP_4)
	v_mul_f32_e32 v9, v7, v8
	v_mul_f32_e32 v8, v6, v8
	v_dual_mul_f32 v6, v6, v5 :: v_dual_mul_f32 v5, v5, v7
	s_delay_alu instid0(VALU_DEP_2) | instskip(NEXT) | instid1(VALU_DEP_2)
	v_bfe_u32 v10, v8, 16, 1
	v_bfe_u32 v11, v6, 16, 1
	s_delay_alu instid0(VALU_DEP_3)
	v_bfe_u32 v12, v5, 16, 1
	v_cmp_o_f32_e64 s1, v6, v6
	v_cmp_o_f32_e64 s2, v8, v8
	v_add3_u32 v10, v8, v10, 0x7fff
	v_add3_u32 v11, v6, v11, 0x7fff
	;; [unrolled: 1-line block ×3, first 2 shown]
	s_delay_alu instid0(VALU_DEP_3) | instskip(SKIP_1) | instid1(VALU_DEP_3)
	v_and_b32_e32 v10, 0xffff0000, v10
	v_bfe_u32 v7, v9, 16, 1
	v_and_b32_e32 v12, 0xffff0000, v12
	v_cmp_o_f32_e32 vcc_lo, v9, v9
	v_cmp_o_f32_e64 s0, v5, v5
	v_cndmask_b32_e64 v5, 0x7fc00000, v10, s2
	v_add3_u32 v7, v9, v7, 0x7fff
	s_delay_alu instid0(VALU_DEP_3) | instskip(NEXT) | instid1(VALU_DEP_2)
	v_cndmask_b32_e64 v8, 0x7fc00000, v12, s0
	v_and_b32_e32 v7, 0xffff0000, v7
	s_delay_alu instid0(VALU_DEP_1) | instskip(SKIP_1) | instid1(VALU_DEP_2)
	v_dual_add_f32 v5, v8, v5 :: v_dual_cndmask_b32 v6, 0x7fc00000, v7
	v_and_b32_e32 v11, 0xffff0000, v11
	v_bfe_u32 v8, v5, 16, 1
	v_cmp_o_f32_e32 vcc_lo, v5, v5
	s_delay_alu instid0(VALU_DEP_3) | instskip(NEXT) | instid1(VALU_DEP_3)
	v_cndmask_b32_e64 v7, 0x7fc00000, v11, s1
	v_add3_u32 v8, v5, v8, 0x7fff
	s_delay_alu instid0(VALU_DEP_2) | instskip(NEXT) | instid1(VALU_DEP_2)
	v_sub_f32_e32 v6, v7, v6
	v_lshrrev_b32_e32 v8, 16, v8
	s_delay_alu instid0(VALU_DEP_2) | instskip(SKIP_1) | instid1(VALU_DEP_2)
	v_bfe_u32 v7, v6, 16, 1
	v_cmp_o_f32_e64 s0, v6, v6
	v_add3_u32 v7, v6, v7, 0x7fff
	s_delay_alu instid0(VALU_DEP_4) | instskip(SKIP_1) | instid1(VALU_DEP_3)
	v_cndmask_b32_e32 v6, 0x7fc0, v8, vcc_lo
	v_cmp_le_i32_e32 vcc_lo, s3, v0
	v_lshrrev_b32_e32 v7, 16, v7
	s_or_b32 s7, vcc_lo, s7
	s_delay_alu instid0(VALU_DEP_1) | instskip(NEXT) | instid1(VALU_DEP_1)
	v_cndmask_b32_e64 v5, 0x7fc0, v7, s0
	v_perm_b32 v5, v6, v5, 0x5040100
	global_store_b32 v[3:4], v5, off
	s_and_not1_b32 exec_lo, exec_lo, s7
	s_cbranch_execnz .LBB5_6
.LBB5_7:
	s_nop 0
	s_sendmsg sendmsg(MSG_DEALLOC_VGPRS)
	s_endpgm
	.section	.rodata,"a",@progbits
	.p2align	6, 0x0
	.amdhsa_kernel _ZN4vllm23rotary_embedding_kernelIN3c108BFloat16ELb0EEEvPKlPT_S6_PKS5_illliii
		.amdhsa_group_segment_fixed_size 0
		.amdhsa_private_segment_fixed_size 0
		.amdhsa_kernarg_size 336
		.amdhsa_user_sgpr_count 15
		.amdhsa_user_sgpr_dispatch_ptr 0
		.amdhsa_user_sgpr_queue_ptr 0
		.amdhsa_user_sgpr_kernarg_segment_ptr 1
		.amdhsa_user_sgpr_dispatch_id 0
		.amdhsa_user_sgpr_private_segment_size 0
		.amdhsa_wavefront_size32 1
		.amdhsa_uses_dynamic_stack 0
		.amdhsa_enable_private_segment 0
		.amdhsa_system_sgpr_workgroup_id_x 1
		.amdhsa_system_sgpr_workgroup_id_y 0
		.amdhsa_system_sgpr_workgroup_id_z 0
		.amdhsa_system_sgpr_workgroup_info 0
		.amdhsa_system_vgpr_workitem_id 0
		.amdhsa_next_free_vgpr 14
		.amdhsa_next_free_sgpr 30
		.amdhsa_reserve_vcc 1
		.amdhsa_float_round_mode_32 0
		.amdhsa_float_round_mode_16_64 0
		.amdhsa_float_denorm_mode_32 3
		.amdhsa_float_denorm_mode_16_64 3
		.amdhsa_dx10_clamp 1
		.amdhsa_ieee_mode 1
		.amdhsa_fp16_overflow 0
		.amdhsa_workgroup_processor_mode 1
		.amdhsa_memory_ordered 1
		.amdhsa_forward_progress 0
		.amdhsa_shared_vgpr_count 0
		.amdhsa_exception_fp_ieee_invalid_op 0
		.amdhsa_exception_fp_denorm_src 0
		.amdhsa_exception_fp_ieee_div_zero 0
		.amdhsa_exception_fp_ieee_overflow 0
		.amdhsa_exception_fp_ieee_underflow 0
		.amdhsa_exception_fp_ieee_inexact 0
		.amdhsa_exception_int_div_zero 0
	.end_amdhsa_kernel
	.section	.text._ZN4vllm23rotary_embedding_kernelIN3c108BFloat16ELb0EEEvPKlPT_S6_PKS5_illliii,"axG",@progbits,_ZN4vllm23rotary_embedding_kernelIN3c108BFloat16ELb0EEEvPKlPT_S6_PKS5_illliii,comdat
.Lfunc_end5:
	.size	_ZN4vllm23rotary_embedding_kernelIN3c108BFloat16ELb0EEEvPKlPT_S6_PKS5_illliii, .Lfunc_end5-_ZN4vllm23rotary_embedding_kernelIN3c108BFloat16ELb0EEEvPKlPT_S6_PKS5_illliii
                                        ; -- End function
	.section	.AMDGPU.csdata,"",@progbits
; Kernel info:
; codeLenInByte = 1872
; NumSgprs: 32
; NumVgprs: 14
; ScratchSize: 0
; MemoryBound: 0
; FloatMode: 240
; IeeeMode: 1
; LDSByteSize: 0 bytes/workgroup (compile time only)
; SGPRBlocks: 3
; VGPRBlocks: 1
; NumSGPRsForWavesPerEU: 32
; NumVGPRsForWavesPerEU: 14
; Occupancy: 16
; WaveLimiterHint : 1
; COMPUTE_PGM_RSRC2:SCRATCH_EN: 0
; COMPUTE_PGM_RSRC2:USER_SGPR: 15
; COMPUTE_PGM_RSRC2:TRAP_HANDLER: 0
; COMPUTE_PGM_RSRC2:TGID_X_EN: 1
; COMPUTE_PGM_RSRC2:TGID_Y_EN: 0
; COMPUTE_PGM_RSRC2:TGID_Z_EN: 0
; COMPUTE_PGM_RSRC2:TIDIG_COMP_CNT: 0
	.section	.text._ZN4vllm31batched_rotary_embedding_kernelIfLb1EEEvPKlPT_S4_PKS3_S2_illliii,"axG",@progbits,_ZN4vllm31batched_rotary_embedding_kernelIfLb1EEEvPKlPT_S4_PKS3_S2_illliii,comdat
	.protected	_ZN4vllm31batched_rotary_embedding_kernelIfLb1EEEvPKlPT_S4_PKS3_S2_illliii ; -- Begin function _ZN4vllm31batched_rotary_embedding_kernelIfLb1EEEvPKlPT_S4_PKS3_S2_illliii
	.globl	_ZN4vllm31batched_rotary_embedding_kernelIfLb1EEEvPKlPT_S4_PKS3_S2_illliii
	.p2align	8
	.type	_ZN4vllm31batched_rotary_embedding_kernelIfLb1EEEvPKlPT_S4_PKS3_S2_illliii,@function
_ZN4vllm31batched_rotary_embedding_kernelIfLb1EEEvPKlPT_S4_PKS3_S2_illliii: ; @_ZN4vllm31batched_rotary_embedding_kernelIfLb1EEEvPKlPT_S4_PKS3_S2_illliii
; %bb.0:
	s_clause 0x2
	s_load_b32 s20, s[0:1], 0x28
	s_load_b64 s[2:3], s[0:1], 0x0
	s_load_b64 s[4:5], s[0:1], 0x20
	s_mov_b32 s16, s15
	s_ashr_i32 s17, s15, 31
	s_load_b128 s[12:15], s[0:1], 0x10
	s_lshl_b64 s[6:7], s[16:17], 3
	s_waitcnt lgkmcnt(0)
	s_ashr_i32 s21, s20, 31
	s_add_u32 s2, s2, s6
	s_addc_u32 s3, s3, s7
	s_add_u32 s4, s4, s6
	s_addc_u32 s5, s5, s7
	s_load_b64 s[2:3], s[2:3], 0x0
	s_load_b64 s[18:19], s[4:5], 0x0
	s_load_b256 s[4:11], s[0:1], 0x30
	s_waitcnt lgkmcnt(0)
	s_add_u32 s2, s18, s2
	s_addc_u32 s3, s19, s3
	s_mul_i32 s18, s2, s21
	s_mul_hi_u32 s19, s2, s20
	s_mul_i32 s3, s3, s20
	s_add_i32 s18, s19, s18
	s_mul_i32 s2, s2, s20
	s_add_i32 s3, s18, s3
	s_mov_b32 s21, exec_lo
	s_lshl_b64 s[2:3], s[2:3], 2
	s_delay_alu instid0(SALU_CYCLE_1) | instskip(SKIP_2) | instid1(SALU_CYCLE_1)
	s_add_u32 s18, s14, s2
	s_addc_u32 s19, s15, s3
	s_lshr_b32 s2, s20, 31
	s_add_i32 s20, s20, s2
	s_delay_alu instid0(SALU_CYCLE_1) | instskip(NEXT) | instid1(SALU_CYCLE_1)
	s_ashr_i32 s14, s20, 1
	s_ashr_i32 s15, s14, 31
	s_mul_i32 s20, s14, s10
	s_lshl_b64 s[2:3], s[14:15], 2
	s_delay_alu instid0(SALU_CYCLE_1)
	s_add_u32 s10, s18, s2
	s_addc_u32 s15, s19, s3
	v_cmpx_gt_i32_e64 s20, v0
	s_cbranch_execz .LBB6_3
; %bb.1:
	s_load_b64 s[22:23], s[0:1], 0x8
	s_mul_i32 s5, s16, s5
	s_mul_hi_u32 s24, s16, s4
	s_mul_i32 s25, s17, s4
	s_add_i32 s5, s24, s5
	s_load_b32 s24, s[0:1], 0x64
	s_mul_i32 s4, s16, s4
	s_add_i32 s5, s5, s25
	s_mov_b32 s25, 0
	s_lshl_b64 s[4:5], s[4:5], 2
	s_waitcnt lgkmcnt(0)
	s_add_u32 s4, s22, s4
	s_addc_u32 s5, s23, s5
	s_abs_i32 s22, s14
	s_sub_i32 s26, 0, s14
	v_cvt_f32_u32_e32 v1, s22
	s_sub_i32 s23, 0, s22
	s_delay_alu instid0(VALU_DEP_1) | instskip(SKIP_2) | instid1(VALU_DEP_1)
	v_rcp_iflag_f32_e32 v1, v1
	s_waitcnt_depctr 0xfff
	v_mul_f32_e32 v1, 0x4f7ffffe, v1
	v_cvt_u32_f32_e32 v1, v1
	s_delay_alu instid0(VALU_DEP_1) | instskip(SKIP_2) | instid1(VALU_DEP_1)
	v_mul_lo_u32 v2, s23, v1
	s_and_b32 s23, s24, 0xffff
	s_ashr_i32 s24, s14, 31
	v_mul_hi_u32 v2, v1, v2
	s_delay_alu instid0(VALU_DEP_1)
	v_dual_mov_b32 v1, v0 :: v_dual_add_nc_u32 v2, v1, v2
.LBB6_2:                                ; =>This Inner Loop Header: Depth=1
	s_delay_alu instid0(VALU_DEP_1) | instskip(SKIP_1) | instid1(VALU_DEP_2)
	v_sub_nc_u32_e32 v3, 0, v1
	v_ashrrev_i32_e32 v4, 31, v1
	v_max_i32_e32 v3, v1, v3
	s_delay_alu instid0(VALU_DEP_2) | instskip(NEXT) | instid1(VALU_DEP_2)
	v_xor_b32_e32 v4, s24, v4
	v_mul_hi_u32 v5, v3, v2
	s_delay_alu instid0(VALU_DEP_1) | instskip(SKIP_1) | instid1(VALU_DEP_2)
	v_mul_lo_u32 v6, v5, s22
	v_add_nc_u32_e32 v7, 1, v5
	v_sub_nc_u32_e32 v3, v3, v6
	s_delay_alu instid0(VALU_DEP_1) | instskip(SKIP_1) | instid1(VALU_DEP_4)
	v_subrev_nc_u32_e32 v6, s22, v3
	v_cmp_le_u32_e32 vcc_lo, s22, v3
	v_cndmask_b32_e32 v5, v5, v7, vcc_lo
	s_delay_alu instid0(VALU_DEP_1) | instskip(NEXT) | instid1(VALU_DEP_1)
	v_dual_cndmask_b32 v3, v3, v6 :: v_dual_add_nc_u32 v6, 1, v5
	v_cmp_le_u32_e32 vcc_lo, s22, v3
	s_delay_alu instid0(VALU_DEP_2) | instskip(NEXT) | instid1(VALU_DEP_1)
	v_cndmask_b32_e32 v3, v5, v6, vcc_lo
	v_xor_b32_e32 v3, v3, v4
	s_delay_alu instid0(VALU_DEP_1) | instskip(NEXT) | instid1(VALU_DEP_1)
	v_sub_nc_u32_e32 v7, v3, v4
	v_mad_u64_u32 v[3:4], null, s26, v7, v[1:2]
	v_ashrrev_i32_e32 v8, 31, v7
	v_mul_lo_u32 v9, v7, s9
	v_mad_u64_u32 v[5:6], null, v7, s8, 0
	v_add_nc_u32_e32 v1, s23, v1
	s_delay_alu instid0(VALU_DEP_4) | instskip(SKIP_1) | instid1(VALU_DEP_1)
	v_mul_lo_u32 v7, v8, s8
	v_ashrrev_i32_e32 v4, 31, v3
	v_lshlrev_b64 v[3:4], 2, v[3:4]
	s_delay_alu instid0(VALU_DEP_3) | instskip(NEXT) | instid1(VALU_DEP_2)
	v_add3_u32 v6, v6, v9, v7
	v_add_co_u32 v7, vcc_lo, s18, v3
	s_delay_alu instid0(VALU_DEP_2) | instskip(NEXT) | instid1(VALU_DEP_4)
	v_lshlrev_b64 v[5:6], 2, v[5:6]
	v_add_co_ci_u32_e32 v8, vcc_lo, s19, v4, vcc_lo
	v_add_co_u32 v9, vcc_lo, s10, v3
	v_add_co_ci_u32_e32 v10, vcc_lo, s15, v4, vcc_lo
	s_delay_alu instid0(VALU_DEP_4) | instskip(SKIP_1) | instid1(VALU_DEP_2)
	v_add_co_u32 v5, vcc_lo, s4, v5
	v_add_co_ci_u32_e32 v6, vcc_lo, s5, v6, vcc_lo
	v_add_co_u32 v3, vcc_lo, v5, v3
	s_delay_alu instid0(VALU_DEP_2) | instskip(NEXT) | instid1(VALU_DEP_2)
	v_add_co_ci_u32_e32 v4, vcc_lo, v6, v4, vcc_lo
	v_add_co_u32 v5, vcc_lo, v3, s2
	s_delay_alu instid0(VALU_DEP_2)
	v_add_co_ci_u32_e32 v6, vcc_lo, s3, v4, vcc_lo
	s_clause 0x1
	global_load_b32 v7, v[7:8], off
	global_load_b32 v8, v[9:10], off
	s_clause 0x1
	global_load_b32 v9, v[3:4], off
	global_load_b32 v10, v[5:6], off
	v_cmp_le_i32_e32 vcc_lo, s20, v1
	s_or_b32 s25, vcc_lo, s25
	s_waitcnt vmcnt(0)
	v_mul_f32_e32 v11, v8, v10
	v_mul_f32_e32 v10, v7, v10
	s_delay_alu instid0(VALU_DEP_2) | instskip(NEXT) | instid1(VALU_DEP_2)
	v_fma_f32 v7, v7, v9, -v11
	v_fmac_f32_e32 v10, v8, v9
	s_clause 0x1
	global_store_b32 v[3:4], v7, off
	global_store_b32 v[5:6], v10, off
	s_and_not1_b32 exec_lo, exec_lo, s25
	s_cbranch_execnz .LBB6_2
.LBB6_3:
	s_or_b32 exec_lo, exec_lo, s21
	s_cmp_lg_u64 s[12:13], 0
	s_cbranch_scc0 .LBB6_7
; %bb.4:
	s_mul_i32 s4, s14, s11
	s_mov_b32 s5, exec_lo
	v_cmpx_gt_i32_e64 s4, v0
	s_cbranch_execz .LBB6_7
; %bb.5:
	s_mul_i32 s5, s16, s7
	s_mul_hi_u32 s7, s16, s6
	s_load_b32 s0, s[0:1], 0x64
	s_add_i32 s5, s7, s5
	s_mul_i32 s7, s17, s6
	s_mul_i32 s6, s16, s6
	s_add_i32 s7, s5, s7
	s_mov_b32 s11, 0
	s_lshl_b64 s[6:7], s[6:7], 2
	s_delay_alu instid0(SALU_CYCLE_1)
	s_add_u32 s5, s12, s6
	s_addc_u32 s6, s13, s7
	s_abs_i32 s7, s14
	s_sub_i32 s12, 0, s14
	v_cvt_f32_u32_e32 v1, s7
	s_sub_i32 s1, 0, s7
	s_delay_alu instid0(VALU_DEP_1) | instskip(SKIP_4) | instid1(VALU_DEP_1)
	v_rcp_iflag_f32_e32 v1, v1
	s_waitcnt lgkmcnt(0)
	s_and_b32 s0, s0, 0xffff
	s_waitcnt_depctr 0xfff
	v_mul_f32_e32 v1, 0x4f7ffffe, v1
	v_cvt_u32_f32_e32 v1, v1
	s_delay_alu instid0(VALU_DEP_1) | instskip(SKIP_1) | instid1(VALU_DEP_1)
	v_mul_lo_u32 v2, s1, v1
	s_ashr_i32 s1, s14, 31
	v_mul_hi_u32 v2, v1, v2
	s_delay_alu instid0(VALU_DEP_1)
	v_add_nc_u32_e32 v1, v1, v2
.LBB6_6:                                ; =>This Inner Loop Header: Depth=1
	v_sub_nc_u32_e32 v2, 0, v0
	v_ashrrev_i32_e32 v3, 31, v0
	s_delay_alu instid0(VALU_DEP_2) | instskip(NEXT) | instid1(VALU_DEP_2)
	v_max_i32_e32 v2, v0, v2
	v_xor_b32_e32 v3, s1, v3
	s_delay_alu instid0(VALU_DEP_2) | instskip(NEXT) | instid1(VALU_DEP_1)
	v_mul_hi_u32 v4, v2, v1
	v_mul_lo_u32 v5, v4, s7
	v_add_nc_u32_e32 v6, 1, v4
	s_delay_alu instid0(VALU_DEP_2) | instskip(NEXT) | instid1(VALU_DEP_1)
	v_sub_nc_u32_e32 v2, v2, v5
	v_subrev_nc_u32_e32 v5, s7, v2
	v_cmp_le_u32_e32 vcc_lo, s7, v2
	s_delay_alu instid0(VALU_DEP_4) | instskip(NEXT) | instid1(VALU_DEP_1)
	v_cndmask_b32_e32 v4, v4, v6, vcc_lo
	v_dual_cndmask_b32 v2, v2, v5 :: v_dual_add_nc_u32 v5, 1, v4
	s_delay_alu instid0(VALU_DEP_1) | instskip(NEXT) | instid1(VALU_DEP_2)
	v_cmp_le_u32_e32 vcc_lo, s7, v2
	v_cndmask_b32_e32 v2, v4, v5, vcc_lo
	s_delay_alu instid0(VALU_DEP_1) | instskip(NEXT) | instid1(VALU_DEP_1)
	v_xor_b32_e32 v2, v2, v3
	v_sub_nc_u32_e32 v6, v2, v3
	s_delay_alu instid0(VALU_DEP_1) | instskip(SKIP_4) | instid1(VALU_DEP_4)
	v_mad_u64_u32 v[2:3], null, s12, v6, v[0:1]
	v_ashrrev_i32_e32 v7, 31, v6
	v_mul_lo_u32 v8, v6, s9
	v_mad_u64_u32 v[4:5], null, v6, s8, 0
	v_add_nc_u32_e32 v0, s0, v0
	v_mul_lo_u32 v6, v7, s8
	v_ashrrev_i32_e32 v3, 31, v2
	s_delay_alu instid0(VALU_DEP_1) | instskip(NEXT) | instid1(VALU_DEP_3)
	v_lshlrev_b64 v[2:3], 2, v[2:3]
	v_add3_u32 v5, v5, v8, v6
	s_delay_alu instid0(VALU_DEP_2) | instskip(NEXT) | instid1(VALU_DEP_2)
	v_add_co_u32 v6, vcc_lo, s18, v2
	v_lshlrev_b64 v[4:5], 2, v[4:5]
	s_delay_alu instid0(VALU_DEP_4) | instskip(SKIP_2) | instid1(VALU_DEP_4)
	v_add_co_ci_u32_e32 v7, vcc_lo, s19, v3, vcc_lo
	v_add_co_u32 v8, vcc_lo, s10, v2
	v_add_co_ci_u32_e32 v9, vcc_lo, s15, v3, vcc_lo
	v_add_co_u32 v4, vcc_lo, s5, v4
	v_add_co_ci_u32_e32 v5, vcc_lo, s6, v5, vcc_lo
	s_delay_alu instid0(VALU_DEP_2) | instskip(NEXT) | instid1(VALU_DEP_2)
	v_add_co_u32 v2, vcc_lo, v4, v2
	v_add_co_ci_u32_e32 v3, vcc_lo, v5, v3, vcc_lo
	s_delay_alu instid0(VALU_DEP_2) | instskip(NEXT) | instid1(VALU_DEP_2)
	v_add_co_u32 v4, vcc_lo, v2, s2
	v_add_co_ci_u32_e32 v5, vcc_lo, s3, v3, vcc_lo
	s_clause 0x1
	global_load_b32 v6, v[6:7], off
	global_load_b32 v7, v[8:9], off
	s_clause 0x1
	global_load_b32 v8, v[2:3], off
	global_load_b32 v9, v[4:5], off
	v_cmp_le_i32_e32 vcc_lo, s4, v0
	s_or_b32 s11, vcc_lo, s11
	s_waitcnt vmcnt(0)
	v_mul_f32_e32 v10, v7, v9
	v_mul_f32_e32 v9, v6, v9
	s_delay_alu instid0(VALU_DEP_2) | instskip(NEXT) | instid1(VALU_DEP_2)
	v_fma_f32 v6, v6, v8, -v10
	v_fmac_f32_e32 v9, v7, v8
	s_clause 0x1
	global_store_b32 v[2:3], v6, off
	global_store_b32 v[4:5], v9, off
	s_and_not1_b32 exec_lo, exec_lo, s11
	s_cbranch_execnz .LBB6_6
.LBB6_7:
	s_nop 0
	s_sendmsg sendmsg(MSG_DEALLOC_VGPRS)
	s_endpgm
	.section	.rodata,"a",@progbits
	.p2align	6, 0x0
	.amdhsa_kernel _ZN4vllm31batched_rotary_embedding_kernelIfLb1EEEvPKlPT_S4_PKS3_S2_illliii
		.amdhsa_group_segment_fixed_size 0
		.amdhsa_private_segment_fixed_size 0
		.amdhsa_kernarg_size 344
		.amdhsa_user_sgpr_count 15
		.amdhsa_user_sgpr_dispatch_ptr 0
		.amdhsa_user_sgpr_queue_ptr 0
		.amdhsa_user_sgpr_kernarg_segment_ptr 1
		.amdhsa_user_sgpr_dispatch_id 0
		.amdhsa_user_sgpr_private_segment_size 0
		.amdhsa_wavefront_size32 1
		.amdhsa_uses_dynamic_stack 0
		.amdhsa_enable_private_segment 0
		.amdhsa_system_sgpr_workgroup_id_x 1
		.amdhsa_system_sgpr_workgroup_id_y 0
		.amdhsa_system_sgpr_workgroup_id_z 0
		.amdhsa_system_sgpr_workgroup_info 0
		.amdhsa_system_vgpr_workitem_id 0
		.amdhsa_next_free_vgpr 12
		.amdhsa_next_free_sgpr 27
		.amdhsa_reserve_vcc 1
		.amdhsa_float_round_mode_32 0
		.amdhsa_float_round_mode_16_64 0
		.amdhsa_float_denorm_mode_32 3
		.amdhsa_float_denorm_mode_16_64 3
		.amdhsa_dx10_clamp 1
		.amdhsa_ieee_mode 1
		.amdhsa_fp16_overflow 0
		.amdhsa_workgroup_processor_mode 1
		.amdhsa_memory_ordered 1
		.amdhsa_forward_progress 0
		.amdhsa_shared_vgpr_count 0
		.amdhsa_exception_fp_ieee_invalid_op 0
		.amdhsa_exception_fp_denorm_src 0
		.amdhsa_exception_fp_ieee_div_zero 0
		.amdhsa_exception_fp_ieee_overflow 0
		.amdhsa_exception_fp_ieee_underflow 0
		.amdhsa_exception_fp_ieee_inexact 0
		.amdhsa_exception_int_div_zero 0
	.end_amdhsa_kernel
	.section	.text._ZN4vllm31batched_rotary_embedding_kernelIfLb1EEEvPKlPT_S4_PKS3_S2_illliii,"axG",@progbits,_ZN4vllm31batched_rotary_embedding_kernelIfLb1EEEvPKlPT_S4_PKS3_S2_illliii,comdat
.Lfunc_end6:
	.size	_ZN4vllm31batched_rotary_embedding_kernelIfLb1EEEvPKlPT_S4_PKS3_S2_illliii, .Lfunc_end6-_ZN4vllm31batched_rotary_embedding_kernelIfLb1EEEvPKlPT_S4_PKS3_S2_illliii
                                        ; -- End function
	.section	.AMDGPU.csdata,"",@progbits
; Kernel info:
; codeLenInByte = 1244
; NumSgprs: 29
; NumVgprs: 12
; ScratchSize: 0
; MemoryBound: 0
; FloatMode: 240
; IeeeMode: 1
; LDSByteSize: 0 bytes/workgroup (compile time only)
; SGPRBlocks: 3
; VGPRBlocks: 1
; NumSGPRsForWavesPerEU: 29
; NumVGPRsForWavesPerEU: 12
; Occupancy: 16
; WaveLimiterHint : 1
; COMPUTE_PGM_RSRC2:SCRATCH_EN: 0
; COMPUTE_PGM_RSRC2:USER_SGPR: 15
; COMPUTE_PGM_RSRC2:TRAP_HANDLER: 0
; COMPUTE_PGM_RSRC2:TGID_X_EN: 1
; COMPUTE_PGM_RSRC2:TGID_Y_EN: 0
; COMPUTE_PGM_RSRC2:TGID_Z_EN: 0
; COMPUTE_PGM_RSRC2:TIDIG_COMP_CNT: 0
	.section	.text._ZN4vllm31batched_rotary_embedding_kernelIfLb0EEEvPKlPT_S4_PKS3_S2_illliii,"axG",@progbits,_ZN4vllm31batched_rotary_embedding_kernelIfLb0EEEvPKlPT_S4_PKS3_S2_illliii,comdat
	.protected	_ZN4vllm31batched_rotary_embedding_kernelIfLb0EEEvPKlPT_S4_PKS3_S2_illliii ; -- Begin function _ZN4vllm31batched_rotary_embedding_kernelIfLb0EEEvPKlPT_S4_PKS3_S2_illliii
	.globl	_ZN4vllm31batched_rotary_embedding_kernelIfLb0EEEvPKlPT_S4_PKS3_S2_illliii
	.p2align	8
	.type	_ZN4vllm31batched_rotary_embedding_kernelIfLb0EEEvPKlPT_S4_PKS3_S2_illliii,@function
_ZN4vllm31batched_rotary_embedding_kernelIfLb0EEEvPKlPT_S4_PKS3_S2_illliii: ; @_ZN4vllm31batched_rotary_embedding_kernelIfLb0EEEvPKlPT_S4_PKS3_S2_illliii
; %bb.0:
	s_clause 0x2
	s_load_b32 s20, s[0:1], 0x28
	s_load_b64 s[2:3], s[0:1], 0x0
	s_load_b64 s[4:5], s[0:1], 0x20
	s_mov_b32 s16, s15
	s_ashr_i32 s17, s15, 31
	s_load_b128 s[12:15], s[0:1], 0x10
	s_lshl_b64 s[6:7], s[16:17], 3
	s_waitcnt lgkmcnt(0)
	s_ashr_i32 s21, s20, 31
	s_add_u32 s2, s2, s6
	s_addc_u32 s3, s3, s7
	s_add_u32 s4, s4, s6
	s_addc_u32 s5, s5, s7
	s_load_b64 s[2:3], s[2:3], 0x0
	s_load_b64 s[18:19], s[4:5], 0x0
	s_load_b256 s[4:11], s[0:1], 0x30
	s_waitcnt lgkmcnt(0)
	s_add_u32 s2, s18, s2
	s_addc_u32 s3, s19, s3
	s_mul_i32 s18, s2, s21
	s_mul_hi_u32 s19, s2, s20
	s_mul_i32 s3, s3, s20
	s_add_i32 s18, s19, s18
	s_mul_i32 s2, s2, s20
	s_add_i32 s3, s18, s3
	s_delay_alu instid0(SALU_CYCLE_1) | instskip(NEXT) | instid1(SALU_CYCLE_1)
	s_lshl_b64 s[2:3], s[2:3], 2
	s_add_u32 s14, s14, s2
	s_addc_u32 s15, s15, s3
	s_lshr_b32 s2, s20, 31
	s_delay_alu instid0(SALU_CYCLE_1) | instskip(NEXT) | instid1(SALU_CYCLE_1)
	s_add_i32 s20, s20, s2
	s_ashr_i32 s2, s20, 1
	s_delay_alu instid0(SALU_CYCLE_1) | instskip(SKIP_2) | instid1(SALU_CYCLE_1)
	s_ashr_i32 s3, s2, 31
	s_mul_i32 s19, s2, s10
	s_lshl_b64 s[20:21], s[2:3], 2
	s_add_u32 s10, s14, s20
	s_addc_u32 s18, s15, s21
	s_mov_b32 s20, exec_lo
	v_cmpx_gt_i32_e64 s19, v0
	s_cbranch_execz .LBB7_3
; %bb.1:
	s_load_b64 s[22:23], s[0:1], 0x8
	s_mul_i32 s5, s16, s5
	s_mul_hi_u32 s21, s16, s4
	s_mul_i32 s24, s17, s4
	s_add_i32 s5, s21, s5
	s_mul_i32 s4, s16, s4
	s_add_i32 s5, s5, s24
	s_load_b32 s24, s[0:1], 0x64
	s_lshl_b64 s[4:5], s[4:5], 2
	s_waitcnt lgkmcnt(0)
	s_add_u32 s4, s22, s4
	s_addc_u32 s5, s23, s5
	s_abs_i32 s21, s2
	s_sub_i32 s26, 0, s2
	v_cvt_f32_u32_e32 v1, s21
	s_sub_i32 s22, 0, s21
	s_and_b32 s23, s24, 0xffff
	s_lshl_b32 s24, s2, 1
	s_delay_alu instid0(VALU_DEP_1) | instskip(SKIP_4) | instid1(VALU_DEP_1)
	v_rcp_iflag_f32_e32 v1, v1
	s_sub_i32 s24, 0, s24
	s_lshl_b32 s25, s23, 1
	s_waitcnt_depctr 0xfff
	v_mul_f32_e32 v1, 0x4f7ffffe, v1
	v_cvt_u32_f32_e32 v2, v1
	s_delay_alu instid0(VALU_DEP_1) | instskip(SKIP_1) | instid1(VALU_DEP_1)
	v_mul_lo_u32 v1, s22, v2
	s_mov_b32 s22, 0
	v_mul_hi_u32 v3, v2, v1
	v_lshlrev_b32_e32 v1, 1, v0
	s_delay_alu instid0(VALU_DEP_2)
	v_dual_mov_b32 v2, v0 :: v_dual_add_nc_u32 v3, v2, v3
.LBB7_2:                                ; =>This Inner Loop Header: Depth=1
	s_delay_alu instid0(VALU_DEP_1) | instskip(SKIP_1) | instid1(VALU_DEP_2)
	v_sub_nc_u32_e32 v4, 0, v2
	v_ashrrev_i32_e32 v5, 31, v2
	v_max_i32_e32 v4, v2, v4
	s_delay_alu instid0(VALU_DEP_2) | instskip(NEXT) | instid1(VALU_DEP_2)
	v_xor_b32_e32 v5, s3, v5
	v_mul_hi_u32 v6, v4, v3
	s_delay_alu instid0(VALU_DEP_1) | instskip(SKIP_1) | instid1(VALU_DEP_2)
	v_mul_lo_u32 v7, v6, s21
	v_add_nc_u32_e32 v8, 1, v6
	v_sub_nc_u32_e32 v4, v4, v7
	s_delay_alu instid0(VALU_DEP_1) | instskip(SKIP_1) | instid1(VALU_DEP_4)
	v_subrev_nc_u32_e32 v7, s21, v4
	v_cmp_le_u32_e32 vcc_lo, s21, v4
	v_cndmask_b32_e32 v6, v6, v8, vcc_lo
	s_delay_alu instid0(VALU_DEP_1) | instskip(NEXT) | instid1(VALU_DEP_1)
	v_dual_cndmask_b32 v4, v4, v7 :: v_dual_add_nc_u32 v7, 1, v6
	v_cmp_le_u32_e32 vcc_lo, s21, v4
	s_delay_alu instid0(VALU_DEP_2) | instskip(NEXT) | instid1(VALU_DEP_1)
	v_cndmask_b32_e32 v4, v6, v7, vcc_lo
	v_xor_b32_e32 v4, v4, v5
	s_delay_alu instid0(VALU_DEP_1) | instskip(NEXT) | instid1(VALU_DEP_1)
	v_sub_nc_u32_e32 v10, v4, v5
	v_mad_u64_u32 v[4:5], null, s26, v10, v[2:3]
	v_ashrrev_i32_e32 v11, 31, v10
	v_mul_lo_u32 v12, v10, s9
	v_mad_u64_u32 v[6:7], null, v10, s8, 0
	v_mad_u64_u32 v[8:9], null, s24, v10, v[1:2]
	v_add_nc_u32_e32 v1, s25, v1
	v_mul_lo_u32 v10, v11, s8
	v_ashrrev_i32_e32 v5, 31, v4
	s_delay_alu instid0(VALU_DEP_4) | instskip(NEXT) | instid1(VALU_DEP_2)
	v_ashrrev_i32_e32 v9, 31, v8
	v_lshlrev_b64 v[4:5], 2, v[4:5]
	s_delay_alu instid0(VALU_DEP_4) | instskip(NEXT) | instid1(VALU_DEP_3)
	v_add3_u32 v7, v7, v12, v10
	v_lshlrev_b64 v[8:9], 2, v[8:9]
	s_delay_alu instid0(VALU_DEP_3) | instskip(NEXT) | instid1(VALU_DEP_3)
	v_add_co_u32 v10, vcc_lo, s14, v4
	v_lshlrev_b64 v[6:7], 2, v[6:7]
	v_add_co_ci_u32_e32 v11, vcc_lo, s15, v5, vcc_lo
	v_add_co_u32 v4, vcc_lo, s10, v4
	v_add_co_ci_u32_e32 v5, vcc_lo, s18, v5, vcc_lo
	s_delay_alu instid0(VALU_DEP_4) | instskip(SKIP_1) | instid1(VALU_DEP_2)
	v_add_co_u32 v6, vcc_lo, s4, v6
	v_add_co_ci_u32_e32 v7, vcc_lo, s5, v7, vcc_lo
	v_add_co_u32 v6, vcc_lo, v6, v8
	s_delay_alu instid0(VALU_DEP_2)
	v_add_co_ci_u32_e32 v7, vcc_lo, v7, v9, vcc_lo
	s_clause 0x1
	global_load_b32 v8, v[10:11], off
	global_load_b32 v10, v[4:5], off
	global_load_b64 v[4:5], v[6:7], off
	s_waitcnt vmcnt(0)
	v_dual_mul_f32 v9, v8, v5 :: v_dual_add_nc_u32 v2, s23, v2
	v_mul_f32_e32 v11, v10, v5
	s_delay_alu instid0(VALU_DEP_2) | instskip(NEXT) | instid1(VALU_DEP_3)
	v_fmac_f32_e32 v9, v10, v4
	v_cmp_le_i32_e32 vcc_lo, s19, v2
	s_delay_alu instid0(VALU_DEP_3)
	v_fma_f32 v8, v8, v4, -v11
	s_or_b32 s22, vcc_lo, s22
	global_store_b64 v[6:7], v[8:9], off
	s_and_not1_b32 exec_lo, exec_lo, s22
	s_cbranch_execnz .LBB7_2
.LBB7_3:
	s_or_b32 exec_lo, exec_lo, s20
	s_cmp_lg_u64 s[12:13], 0
	s_cbranch_scc0 .LBB7_7
; %bb.4:
	s_mul_i32 s4, s2, s11
	s_mov_b32 s5, exec_lo
	v_cmpx_gt_i32_e64 s4, v0
	s_cbranch_execz .LBB7_7
; %bb.5:
	s_mul_i32 s5, s16, s7
	s_mul_hi_u32 s7, s16, s6
	s_load_b32 s1, s[0:1], 0x64
	s_add_i32 s5, s7, s5
	s_mul_i32 s7, s17, s6
	s_mul_i32 s6, s16, s6
	s_add_i32 s7, s5, s7
	s_delay_alu instid0(SALU_CYCLE_1) | instskip(NEXT) | instid1(SALU_CYCLE_1)
	s_lshl_b64 s[6:7], s[6:7], 2
	s_add_u32 s5, s12, s6
	s_addc_u32 s6, s13, s7
	s_abs_i32 s7, s2
	s_lshl_b32 s11, s2, 1
	v_cvt_f32_u32_e32 v1, s7
	s_sub_i32 s0, 0, s7
	s_sub_i32 s11, 0, s11
	;; [unrolled: 1-line block ×3, first 2 shown]
	s_delay_alu instid0(VALU_DEP_1) | instskip(SKIP_2) | instid1(SALU_CYCLE_1)
	v_rcp_iflag_f32_e32 v1, v1
	s_waitcnt lgkmcnt(0)
	s_and_b32 s1, s1, 0xffff
	s_lshl_b32 s12, s1, 1
	s_waitcnt_depctr 0xfff
	v_mul_f32_e32 v1, 0x4f7ffffe, v1
	s_delay_alu instid0(VALU_DEP_1) | instskip(NEXT) | instid1(VALU_DEP_1)
	v_cvt_u32_f32_e32 v1, v1
	v_mul_lo_u32 v2, s0, v1
	s_mov_b32 s0, 0
	s_delay_alu instid0(VALU_DEP_1) | instskip(NEXT) | instid1(VALU_DEP_1)
	v_mul_hi_u32 v2, v1, v2
	v_add_nc_u32_e32 v2, v1, v2
	v_lshlrev_b32_e32 v1, 1, v0
.LBB7_6:                                ; =>This Inner Loop Header: Depth=1
	v_sub_nc_u32_e32 v3, 0, v0
	v_ashrrev_i32_e32 v4, 31, v0
	s_delay_alu instid0(VALU_DEP_2) | instskip(NEXT) | instid1(VALU_DEP_2)
	v_max_i32_e32 v3, v0, v3
	v_xor_b32_e32 v4, s3, v4
	s_delay_alu instid0(VALU_DEP_2) | instskip(NEXT) | instid1(VALU_DEP_1)
	v_mul_hi_u32 v5, v3, v2
	v_mul_lo_u32 v6, v5, s7
	v_add_nc_u32_e32 v7, 1, v5
	s_delay_alu instid0(VALU_DEP_2) | instskip(NEXT) | instid1(VALU_DEP_1)
	v_sub_nc_u32_e32 v3, v3, v6
	v_subrev_nc_u32_e32 v6, s7, v3
	v_cmp_le_u32_e32 vcc_lo, s7, v3
	s_delay_alu instid0(VALU_DEP_4) | instskip(NEXT) | instid1(VALU_DEP_1)
	v_cndmask_b32_e32 v5, v5, v7, vcc_lo
	v_dual_cndmask_b32 v3, v3, v6 :: v_dual_add_nc_u32 v6, 1, v5
	s_delay_alu instid0(VALU_DEP_1) | instskip(NEXT) | instid1(VALU_DEP_2)
	v_cmp_le_u32_e32 vcc_lo, s7, v3
	v_cndmask_b32_e32 v3, v5, v6, vcc_lo
	s_delay_alu instid0(VALU_DEP_1) | instskip(NEXT) | instid1(VALU_DEP_1)
	v_xor_b32_e32 v3, v3, v4
	v_sub_nc_u32_e32 v9, v3, v4
	s_delay_alu instid0(VALU_DEP_1) | instskip(SKIP_4) | instid1(VALU_DEP_4)
	v_mad_u64_u32 v[3:4], null, s2, v9, v[0:1]
	v_ashrrev_i32_e32 v10, 31, v9
	v_mul_lo_u32 v11, v9, s9
	v_mad_u64_u32 v[5:6], null, v9, s8, 0
	v_mad_u64_u32 v[7:8], null, s11, v9, v[1:2]
	v_mul_lo_u32 v9, v10, s8
	v_ashrrev_i32_e32 v4, 31, v3
	v_add_nc_u32_e32 v0, s1, v0
	v_add_nc_u32_e32 v1, s12, v1
	s_delay_alu instid0(VALU_DEP_3) | instskip(SKIP_2) | instid1(VALU_DEP_3)
	v_lshlrev_b64 v[3:4], 2, v[3:4]
	v_ashrrev_i32_e32 v8, 31, v7
	v_add3_u32 v6, v6, v11, v9
	v_add_co_u32 v9, vcc_lo, s14, v3
	s_delay_alu instid0(VALU_DEP_2)
	v_lshlrev_b64 v[5:6], 2, v[5:6]
	v_add_co_ci_u32_e32 v10, vcc_lo, s15, v4, vcc_lo
	v_add_co_u32 v3, vcc_lo, s10, v3
	v_lshlrev_b64 v[7:8], 2, v[7:8]
	v_add_co_ci_u32_e32 v4, vcc_lo, s18, v4, vcc_lo
	v_add_co_u32 v5, vcc_lo, s5, v5
	v_add_co_ci_u32_e32 v6, vcc_lo, s6, v6, vcc_lo
	s_delay_alu instid0(VALU_DEP_2) | instskip(NEXT) | instid1(VALU_DEP_2)
	v_add_co_u32 v5, vcc_lo, v5, v7
	v_add_co_ci_u32_e32 v6, vcc_lo, v6, v8, vcc_lo
	s_clause 0x1
	global_load_b32 v7, v[9:10], off
	global_load_b32 v9, v[3:4], off
	global_load_b64 v[3:4], v[5:6], off
	v_cmp_le_i32_e32 vcc_lo, s4, v0
	s_or_b32 s0, vcc_lo, s0
	s_waitcnt vmcnt(0)
	v_mul_f32_e32 v8, v7, v4
	v_mul_f32_e32 v10, v9, v4
	s_delay_alu instid0(VALU_DEP_2) | instskip(NEXT) | instid1(VALU_DEP_2)
	v_fmac_f32_e32 v8, v9, v3
	v_fma_f32 v7, v7, v3, -v10
	global_store_b64 v[5:6], v[7:8], off
	s_and_not1_b32 exec_lo, exec_lo, s0
	s_cbranch_execnz .LBB7_6
.LBB7_7:
	s_nop 0
	s_sendmsg sendmsg(MSG_DEALLOC_VGPRS)
	s_endpgm
	.section	.rodata,"a",@progbits
	.p2align	6, 0x0
	.amdhsa_kernel _ZN4vllm31batched_rotary_embedding_kernelIfLb0EEEvPKlPT_S4_PKS3_S2_illliii
		.amdhsa_group_segment_fixed_size 0
		.amdhsa_private_segment_fixed_size 0
		.amdhsa_kernarg_size 344
		.amdhsa_user_sgpr_count 15
		.amdhsa_user_sgpr_dispatch_ptr 0
		.amdhsa_user_sgpr_queue_ptr 0
		.amdhsa_user_sgpr_kernarg_segment_ptr 1
		.amdhsa_user_sgpr_dispatch_id 0
		.amdhsa_user_sgpr_private_segment_size 0
		.amdhsa_wavefront_size32 1
		.amdhsa_uses_dynamic_stack 0
		.amdhsa_enable_private_segment 0
		.amdhsa_system_sgpr_workgroup_id_x 1
		.amdhsa_system_sgpr_workgroup_id_y 0
		.amdhsa_system_sgpr_workgroup_id_z 0
		.amdhsa_system_sgpr_workgroup_info 0
		.amdhsa_system_vgpr_workitem_id 0
		.amdhsa_next_free_vgpr 13
		.amdhsa_next_free_sgpr 27
		.amdhsa_reserve_vcc 1
		.amdhsa_float_round_mode_32 0
		.amdhsa_float_round_mode_16_64 0
		.amdhsa_float_denorm_mode_32 3
		.amdhsa_float_denorm_mode_16_64 3
		.amdhsa_dx10_clamp 1
		.amdhsa_ieee_mode 1
		.amdhsa_fp16_overflow 0
		.amdhsa_workgroup_processor_mode 1
		.amdhsa_memory_ordered 1
		.amdhsa_forward_progress 0
		.amdhsa_shared_vgpr_count 0
		.amdhsa_exception_fp_ieee_invalid_op 0
		.amdhsa_exception_fp_denorm_src 0
		.amdhsa_exception_fp_ieee_div_zero 0
		.amdhsa_exception_fp_ieee_overflow 0
		.amdhsa_exception_fp_ieee_underflow 0
		.amdhsa_exception_fp_ieee_inexact 0
		.amdhsa_exception_int_div_zero 0
	.end_amdhsa_kernel
	.section	.text._ZN4vllm31batched_rotary_embedding_kernelIfLb0EEEvPKlPT_S4_PKS3_S2_illliii,"axG",@progbits,_ZN4vllm31batched_rotary_embedding_kernelIfLb0EEEvPKlPT_S4_PKS3_S2_illliii,comdat
.Lfunc_end7:
	.size	_ZN4vllm31batched_rotary_embedding_kernelIfLb0EEEvPKlPT_S4_PKS3_S2_illliii, .Lfunc_end7-_ZN4vllm31batched_rotary_embedding_kernelIfLb0EEEvPKlPT_S4_PKS3_S2_illliii
                                        ; -- End function
	.section	.AMDGPU.csdata,"",@progbits
; Kernel info:
; codeLenInByte = 1236
; NumSgprs: 29
; NumVgprs: 13
; ScratchSize: 0
; MemoryBound: 0
; FloatMode: 240
; IeeeMode: 1
; LDSByteSize: 0 bytes/workgroup (compile time only)
; SGPRBlocks: 3
; VGPRBlocks: 1
; NumSGPRsForWavesPerEU: 29
; NumVGPRsForWavesPerEU: 13
; Occupancy: 16
; WaveLimiterHint : 1
; COMPUTE_PGM_RSRC2:SCRATCH_EN: 0
; COMPUTE_PGM_RSRC2:USER_SGPR: 15
; COMPUTE_PGM_RSRC2:TRAP_HANDLER: 0
; COMPUTE_PGM_RSRC2:TGID_X_EN: 1
; COMPUTE_PGM_RSRC2:TGID_Y_EN: 0
; COMPUTE_PGM_RSRC2:TGID_Z_EN: 0
; COMPUTE_PGM_RSRC2:TIDIG_COMP_CNT: 0
	.section	.text._ZN4vllm31batched_rotary_embedding_kernelIN3c104HalfELb1EEEvPKlPT_S6_PKS5_S4_illliii,"axG",@progbits,_ZN4vllm31batched_rotary_embedding_kernelIN3c104HalfELb1EEEvPKlPT_S6_PKS5_S4_illliii,comdat
	.protected	_ZN4vllm31batched_rotary_embedding_kernelIN3c104HalfELb1EEEvPKlPT_S6_PKS5_S4_illliii ; -- Begin function _ZN4vllm31batched_rotary_embedding_kernelIN3c104HalfELb1EEEvPKlPT_S6_PKS5_S4_illliii
	.globl	_ZN4vllm31batched_rotary_embedding_kernelIN3c104HalfELb1EEEvPKlPT_S6_PKS5_S4_illliii
	.p2align	8
	.type	_ZN4vllm31batched_rotary_embedding_kernelIN3c104HalfELb1EEEvPKlPT_S6_PKS5_S4_illliii,@function
_ZN4vllm31batched_rotary_embedding_kernelIN3c104HalfELb1EEEvPKlPT_S6_PKS5_S4_illliii: ; @_ZN4vllm31batched_rotary_embedding_kernelIN3c104HalfELb1EEEvPKlPT_S6_PKS5_S4_illliii
; %bb.0:
	s_clause 0x2
	s_load_b32 s20, s[0:1], 0x28
	s_load_b64 s[2:3], s[0:1], 0x0
	s_load_b64 s[4:5], s[0:1], 0x20
	s_mov_b32 s16, s15
	s_ashr_i32 s17, s15, 31
	s_load_b128 s[12:15], s[0:1], 0x10
	s_lshl_b64 s[6:7], s[16:17], 3
	s_waitcnt lgkmcnt(0)
	s_ashr_i32 s21, s20, 31
	s_add_u32 s2, s2, s6
	s_addc_u32 s3, s3, s7
	s_add_u32 s4, s4, s6
	s_addc_u32 s5, s5, s7
	s_load_b64 s[2:3], s[2:3], 0x0
	s_load_b64 s[18:19], s[4:5], 0x0
	s_load_b256 s[4:11], s[0:1], 0x30
	s_waitcnt lgkmcnt(0)
	s_add_u32 s2, s18, s2
	s_addc_u32 s3, s19, s3
	s_mul_i32 s18, s2, s21
	s_mul_hi_u32 s19, s2, s20
	s_mul_i32 s3, s3, s20
	s_add_i32 s18, s19, s18
	s_mul_i32 s2, s2, s20
	s_add_i32 s3, s18, s3
	s_mov_b32 s21, exec_lo
	s_lshl_b64 s[2:3], s[2:3], 1
	s_delay_alu instid0(SALU_CYCLE_1) | instskip(SKIP_2) | instid1(SALU_CYCLE_1)
	s_add_u32 s18, s14, s2
	s_addc_u32 s19, s15, s3
	s_lshr_b32 s2, s20, 31
	s_add_i32 s20, s20, s2
	s_delay_alu instid0(SALU_CYCLE_1) | instskip(NEXT) | instid1(SALU_CYCLE_1)
	s_ashr_i32 s14, s20, 1
	s_ashr_i32 s15, s14, 31
	s_mul_i32 s20, s14, s10
	s_lshl_b64 s[2:3], s[14:15], 1
	s_delay_alu instid0(SALU_CYCLE_1)
	s_add_u32 s10, s18, s2
	s_addc_u32 s15, s19, s3
	v_cmpx_gt_i32_e64 s20, v0
	s_cbranch_execz .LBB8_3
; %bb.1:
	s_load_b64 s[22:23], s[0:1], 0x8
	s_mul_i32 s5, s16, s5
	s_mul_hi_u32 s24, s16, s4
	s_mul_i32 s25, s17, s4
	s_add_i32 s5, s24, s5
	s_load_b32 s24, s[0:1], 0x64
	s_mul_i32 s4, s16, s4
	s_add_i32 s5, s5, s25
	s_mov_b32 s25, 0
	s_lshl_b64 s[4:5], s[4:5], 1
	s_waitcnt lgkmcnt(0)
	s_add_u32 s4, s22, s4
	s_addc_u32 s5, s23, s5
	s_abs_i32 s22, s14
	s_sub_i32 s26, 0, s14
	v_cvt_f32_u32_e32 v1, s22
	s_sub_i32 s23, 0, s22
	s_delay_alu instid0(VALU_DEP_1) | instskip(SKIP_2) | instid1(VALU_DEP_1)
	v_rcp_iflag_f32_e32 v1, v1
	s_waitcnt_depctr 0xfff
	v_mul_f32_e32 v1, 0x4f7ffffe, v1
	v_cvt_u32_f32_e32 v1, v1
	s_delay_alu instid0(VALU_DEP_1) | instskip(SKIP_2) | instid1(VALU_DEP_1)
	v_mul_lo_u32 v2, s23, v1
	s_and_b32 s23, s24, 0xffff
	s_ashr_i32 s24, s14, 31
	v_mul_hi_u32 v2, v1, v2
	s_delay_alu instid0(VALU_DEP_1)
	v_dual_mov_b32 v1, v0 :: v_dual_add_nc_u32 v2, v1, v2
.LBB8_2:                                ; =>This Inner Loop Header: Depth=1
	s_delay_alu instid0(VALU_DEP_1) | instskip(SKIP_1) | instid1(VALU_DEP_2)
	v_sub_nc_u32_e32 v3, 0, v1
	v_ashrrev_i32_e32 v4, 31, v1
	v_max_i32_e32 v3, v1, v3
	s_delay_alu instid0(VALU_DEP_2) | instskip(NEXT) | instid1(VALU_DEP_2)
	v_xor_b32_e32 v4, s24, v4
	v_mul_hi_u32 v5, v3, v2
	s_delay_alu instid0(VALU_DEP_1) | instskip(SKIP_1) | instid1(VALU_DEP_2)
	v_mul_lo_u32 v6, v5, s22
	v_add_nc_u32_e32 v7, 1, v5
	v_sub_nc_u32_e32 v3, v3, v6
	s_delay_alu instid0(VALU_DEP_1) | instskip(SKIP_1) | instid1(VALU_DEP_4)
	v_subrev_nc_u32_e32 v6, s22, v3
	v_cmp_le_u32_e32 vcc_lo, s22, v3
	v_cndmask_b32_e32 v5, v5, v7, vcc_lo
	s_delay_alu instid0(VALU_DEP_1) | instskip(NEXT) | instid1(VALU_DEP_1)
	v_dual_cndmask_b32 v3, v3, v6 :: v_dual_add_nc_u32 v6, 1, v5
	v_cmp_le_u32_e32 vcc_lo, s22, v3
	s_delay_alu instid0(VALU_DEP_2) | instskip(NEXT) | instid1(VALU_DEP_1)
	v_cndmask_b32_e32 v3, v5, v6, vcc_lo
	v_xor_b32_e32 v3, v3, v4
	s_delay_alu instid0(VALU_DEP_1) | instskip(NEXT) | instid1(VALU_DEP_1)
	v_sub_nc_u32_e32 v7, v3, v4
	v_mad_u64_u32 v[3:4], null, s26, v7, v[1:2]
	v_ashrrev_i32_e32 v8, 31, v7
	v_mul_lo_u32 v9, v7, s9
	v_mad_u64_u32 v[5:6], null, v7, s8, 0
	v_add_nc_u32_e32 v1, s23, v1
	s_delay_alu instid0(VALU_DEP_4) | instskip(SKIP_1) | instid1(VALU_DEP_1)
	v_mul_lo_u32 v7, v8, s8
	v_ashrrev_i32_e32 v4, 31, v3
	v_lshlrev_b64 v[3:4], 1, v[3:4]
	s_delay_alu instid0(VALU_DEP_3) | instskip(NEXT) | instid1(VALU_DEP_2)
	v_add3_u32 v6, v6, v9, v7
	v_add_co_u32 v7, vcc_lo, s18, v3
	s_delay_alu instid0(VALU_DEP_2) | instskip(NEXT) | instid1(VALU_DEP_4)
	v_lshlrev_b64 v[5:6], 1, v[5:6]
	v_add_co_ci_u32_e32 v8, vcc_lo, s19, v4, vcc_lo
	v_add_co_u32 v9, vcc_lo, s10, v3
	v_add_co_ci_u32_e32 v10, vcc_lo, s15, v4, vcc_lo
	s_delay_alu instid0(VALU_DEP_4) | instskip(SKIP_1) | instid1(VALU_DEP_2)
	v_add_co_u32 v5, vcc_lo, s4, v5
	v_add_co_ci_u32_e32 v6, vcc_lo, s5, v6, vcc_lo
	v_add_co_u32 v3, vcc_lo, v5, v3
	s_delay_alu instid0(VALU_DEP_2) | instskip(NEXT) | instid1(VALU_DEP_2)
	v_add_co_ci_u32_e32 v4, vcc_lo, v6, v4, vcc_lo
	v_add_co_u32 v5, vcc_lo, v3, s2
	s_delay_alu instid0(VALU_DEP_2)
	v_add_co_ci_u32_e32 v6, vcc_lo, s3, v4, vcc_lo
	s_clause 0x1
	global_load_u16 v7, v[7:8], off
	global_load_u16 v8, v[9:10], off
	s_clause 0x1
	global_load_u16 v9, v[3:4], off
	global_load_u16 v10, v[5:6], off
	v_cmp_le_i32_e32 vcc_lo, s20, v1
	s_or_b32 s25, vcc_lo, s25
	s_waitcnt vmcnt(0)
	v_mul_f16_e32 v11, v8, v10
	v_mul_f16_e32 v10, v7, v10
	s_delay_alu instid0(VALU_DEP_2) | instskip(NEXT) | instid1(VALU_DEP_2)
	v_fma_f16 v7, v7, v9, -v11
	v_fmac_f16_e32 v10, v8, v9
	s_clause 0x1
	global_store_b16 v[3:4], v7, off
	global_store_b16 v[5:6], v10, off
	s_and_not1_b32 exec_lo, exec_lo, s25
	s_cbranch_execnz .LBB8_2
.LBB8_3:
	s_or_b32 exec_lo, exec_lo, s21
	s_cmp_lg_u64 s[12:13], 0
	s_cbranch_scc0 .LBB8_7
; %bb.4:
	s_mul_i32 s4, s14, s11
	s_mov_b32 s5, exec_lo
	v_cmpx_gt_i32_e64 s4, v0
	s_cbranch_execz .LBB8_7
; %bb.5:
	s_mul_i32 s5, s16, s7
	s_mul_hi_u32 s7, s16, s6
	s_load_b32 s0, s[0:1], 0x64
	s_add_i32 s5, s7, s5
	s_mul_i32 s7, s17, s6
	s_mul_i32 s6, s16, s6
	s_add_i32 s7, s5, s7
	s_mov_b32 s11, 0
	s_lshl_b64 s[6:7], s[6:7], 1
	s_delay_alu instid0(SALU_CYCLE_1)
	s_add_u32 s5, s12, s6
	s_addc_u32 s6, s13, s7
	s_abs_i32 s7, s14
	s_sub_i32 s12, 0, s14
	v_cvt_f32_u32_e32 v1, s7
	s_sub_i32 s1, 0, s7
	s_delay_alu instid0(VALU_DEP_1) | instskip(SKIP_4) | instid1(VALU_DEP_1)
	v_rcp_iflag_f32_e32 v1, v1
	s_waitcnt lgkmcnt(0)
	s_and_b32 s0, s0, 0xffff
	s_waitcnt_depctr 0xfff
	v_mul_f32_e32 v1, 0x4f7ffffe, v1
	v_cvt_u32_f32_e32 v1, v1
	s_delay_alu instid0(VALU_DEP_1) | instskip(SKIP_1) | instid1(VALU_DEP_1)
	v_mul_lo_u32 v2, s1, v1
	s_ashr_i32 s1, s14, 31
	v_mul_hi_u32 v2, v1, v2
	s_delay_alu instid0(VALU_DEP_1)
	v_add_nc_u32_e32 v1, v1, v2
.LBB8_6:                                ; =>This Inner Loop Header: Depth=1
	v_sub_nc_u32_e32 v2, 0, v0
	v_ashrrev_i32_e32 v3, 31, v0
	s_delay_alu instid0(VALU_DEP_2) | instskip(NEXT) | instid1(VALU_DEP_2)
	v_max_i32_e32 v2, v0, v2
	v_xor_b32_e32 v3, s1, v3
	s_delay_alu instid0(VALU_DEP_2) | instskip(NEXT) | instid1(VALU_DEP_1)
	v_mul_hi_u32 v4, v2, v1
	v_mul_lo_u32 v5, v4, s7
	v_add_nc_u32_e32 v6, 1, v4
	s_delay_alu instid0(VALU_DEP_2) | instskip(NEXT) | instid1(VALU_DEP_1)
	v_sub_nc_u32_e32 v2, v2, v5
	v_subrev_nc_u32_e32 v5, s7, v2
	v_cmp_le_u32_e32 vcc_lo, s7, v2
	s_delay_alu instid0(VALU_DEP_4) | instskip(NEXT) | instid1(VALU_DEP_1)
	v_cndmask_b32_e32 v4, v4, v6, vcc_lo
	v_dual_cndmask_b32 v2, v2, v5 :: v_dual_add_nc_u32 v5, 1, v4
	s_delay_alu instid0(VALU_DEP_1) | instskip(NEXT) | instid1(VALU_DEP_2)
	v_cmp_le_u32_e32 vcc_lo, s7, v2
	v_cndmask_b32_e32 v2, v4, v5, vcc_lo
	s_delay_alu instid0(VALU_DEP_1) | instskip(NEXT) | instid1(VALU_DEP_1)
	v_xor_b32_e32 v2, v2, v3
	v_sub_nc_u32_e32 v6, v2, v3
	s_delay_alu instid0(VALU_DEP_1) | instskip(SKIP_4) | instid1(VALU_DEP_4)
	v_mad_u64_u32 v[2:3], null, s12, v6, v[0:1]
	v_ashrrev_i32_e32 v7, 31, v6
	v_mul_lo_u32 v8, v6, s9
	v_mad_u64_u32 v[4:5], null, v6, s8, 0
	v_add_nc_u32_e32 v0, s0, v0
	v_mul_lo_u32 v6, v7, s8
	v_ashrrev_i32_e32 v3, 31, v2
	s_delay_alu instid0(VALU_DEP_1) | instskip(NEXT) | instid1(VALU_DEP_3)
	v_lshlrev_b64 v[2:3], 1, v[2:3]
	v_add3_u32 v5, v5, v8, v6
	s_delay_alu instid0(VALU_DEP_2) | instskip(NEXT) | instid1(VALU_DEP_2)
	v_add_co_u32 v6, vcc_lo, s18, v2
	v_lshlrev_b64 v[4:5], 1, v[4:5]
	s_delay_alu instid0(VALU_DEP_4) | instskip(SKIP_2) | instid1(VALU_DEP_4)
	v_add_co_ci_u32_e32 v7, vcc_lo, s19, v3, vcc_lo
	v_add_co_u32 v8, vcc_lo, s10, v2
	v_add_co_ci_u32_e32 v9, vcc_lo, s15, v3, vcc_lo
	v_add_co_u32 v4, vcc_lo, s5, v4
	v_add_co_ci_u32_e32 v5, vcc_lo, s6, v5, vcc_lo
	s_delay_alu instid0(VALU_DEP_2) | instskip(NEXT) | instid1(VALU_DEP_2)
	v_add_co_u32 v2, vcc_lo, v4, v2
	v_add_co_ci_u32_e32 v3, vcc_lo, v5, v3, vcc_lo
	s_delay_alu instid0(VALU_DEP_2) | instskip(NEXT) | instid1(VALU_DEP_2)
	v_add_co_u32 v4, vcc_lo, v2, s2
	v_add_co_ci_u32_e32 v5, vcc_lo, s3, v3, vcc_lo
	s_clause 0x1
	global_load_u16 v6, v[6:7], off
	global_load_u16 v7, v[8:9], off
	s_clause 0x1
	global_load_u16 v8, v[2:3], off
	global_load_u16 v9, v[4:5], off
	v_cmp_le_i32_e32 vcc_lo, s4, v0
	s_or_b32 s11, vcc_lo, s11
	s_waitcnt vmcnt(0)
	v_mul_f16_e32 v10, v7, v9
	v_mul_f16_e32 v9, v6, v9
	s_delay_alu instid0(VALU_DEP_2) | instskip(NEXT) | instid1(VALU_DEP_2)
	v_fma_f16 v6, v6, v8, -v10
	v_fmac_f16_e32 v9, v7, v8
	s_clause 0x1
	global_store_b16 v[2:3], v6, off
	global_store_b16 v[4:5], v9, off
	s_and_not1_b32 exec_lo, exec_lo, s11
	s_cbranch_execnz .LBB8_6
.LBB8_7:
	s_nop 0
	s_sendmsg sendmsg(MSG_DEALLOC_VGPRS)
	s_endpgm
	.section	.rodata,"a",@progbits
	.p2align	6, 0x0
	.amdhsa_kernel _ZN4vllm31batched_rotary_embedding_kernelIN3c104HalfELb1EEEvPKlPT_S6_PKS5_S4_illliii
		.amdhsa_group_segment_fixed_size 0
		.amdhsa_private_segment_fixed_size 0
		.amdhsa_kernarg_size 344
		.amdhsa_user_sgpr_count 15
		.amdhsa_user_sgpr_dispatch_ptr 0
		.amdhsa_user_sgpr_queue_ptr 0
		.amdhsa_user_sgpr_kernarg_segment_ptr 1
		.amdhsa_user_sgpr_dispatch_id 0
		.amdhsa_user_sgpr_private_segment_size 0
		.amdhsa_wavefront_size32 1
		.amdhsa_uses_dynamic_stack 0
		.amdhsa_enable_private_segment 0
		.amdhsa_system_sgpr_workgroup_id_x 1
		.amdhsa_system_sgpr_workgroup_id_y 0
		.amdhsa_system_sgpr_workgroup_id_z 0
		.amdhsa_system_sgpr_workgroup_info 0
		.amdhsa_system_vgpr_workitem_id 0
		.amdhsa_next_free_vgpr 12
		.amdhsa_next_free_sgpr 27
		.amdhsa_reserve_vcc 1
		.amdhsa_float_round_mode_32 0
		.amdhsa_float_round_mode_16_64 0
		.amdhsa_float_denorm_mode_32 3
		.amdhsa_float_denorm_mode_16_64 3
		.amdhsa_dx10_clamp 1
		.amdhsa_ieee_mode 1
		.amdhsa_fp16_overflow 0
		.amdhsa_workgroup_processor_mode 1
		.amdhsa_memory_ordered 1
		.amdhsa_forward_progress 0
		.amdhsa_shared_vgpr_count 0
		.amdhsa_exception_fp_ieee_invalid_op 0
		.amdhsa_exception_fp_denorm_src 0
		.amdhsa_exception_fp_ieee_div_zero 0
		.amdhsa_exception_fp_ieee_overflow 0
		.amdhsa_exception_fp_ieee_underflow 0
		.amdhsa_exception_fp_ieee_inexact 0
		.amdhsa_exception_int_div_zero 0
	.end_amdhsa_kernel
	.section	.text._ZN4vllm31batched_rotary_embedding_kernelIN3c104HalfELb1EEEvPKlPT_S6_PKS5_S4_illliii,"axG",@progbits,_ZN4vllm31batched_rotary_embedding_kernelIN3c104HalfELb1EEEvPKlPT_S6_PKS5_S4_illliii,comdat
.Lfunc_end8:
	.size	_ZN4vllm31batched_rotary_embedding_kernelIN3c104HalfELb1EEEvPKlPT_S6_PKS5_S4_illliii, .Lfunc_end8-_ZN4vllm31batched_rotary_embedding_kernelIN3c104HalfELb1EEEvPKlPT_S6_PKS5_S4_illliii
                                        ; -- End function
	.section	.AMDGPU.csdata,"",@progbits
; Kernel info:
; codeLenInByte = 1244
; NumSgprs: 29
; NumVgprs: 12
; ScratchSize: 0
; MemoryBound: 0
; FloatMode: 240
; IeeeMode: 1
; LDSByteSize: 0 bytes/workgroup (compile time only)
; SGPRBlocks: 3
; VGPRBlocks: 1
; NumSGPRsForWavesPerEU: 29
; NumVGPRsForWavesPerEU: 12
; Occupancy: 16
; WaveLimiterHint : 1
; COMPUTE_PGM_RSRC2:SCRATCH_EN: 0
; COMPUTE_PGM_RSRC2:USER_SGPR: 15
; COMPUTE_PGM_RSRC2:TRAP_HANDLER: 0
; COMPUTE_PGM_RSRC2:TGID_X_EN: 1
; COMPUTE_PGM_RSRC2:TGID_Y_EN: 0
; COMPUTE_PGM_RSRC2:TGID_Z_EN: 0
; COMPUTE_PGM_RSRC2:TIDIG_COMP_CNT: 0
	.section	.text._ZN4vllm31batched_rotary_embedding_kernelIN3c104HalfELb0EEEvPKlPT_S6_PKS5_S4_illliii,"axG",@progbits,_ZN4vllm31batched_rotary_embedding_kernelIN3c104HalfELb0EEEvPKlPT_S6_PKS5_S4_illliii,comdat
	.protected	_ZN4vllm31batched_rotary_embedding_kernelIN3c104HalfELb0EEEvPKlPT_S6_PKS5_S4_illliii ; -- Begin function _ZN4vllm31batched_rotary_embedding_kernelIN3c104HalfELb0EEEvPKlPT_S6_PKS5_S4_illliii
	.globl	_ZN4vllm31batched_rotary_embedding_kernelIN3c104HalfELb0EEEvPKlPT_S6_PKS5_S4_illliii
	.p2align	8
	.type	_ZN4vllm31batched_rotary_embedding_kernelIN3c104HalfELb0EEEvPKlPT_S6_PKS5_S4_illliii,@function
_ZN4vllm31batched_rotary_embedding_kernelIN3c104HalfELb0EEEvPKlPT_S6_PKS5_S4_illliii: ; @_ZN4vllm31batched_rotary_embedding_kernelIN3c104HalfELb0EEEvPKlPT_S6_PKS5_S4_illliii
; %bb.0:
	s_clause 0x2
	s_load_b32 s20, s[0:1], 0x28
	s_load_b64 s[2:3], s[0:1], 0x0
	s_load_b64 s[4:5], s[0:1], 0x20
	s_mov_b32 s16, s15
	s_ashr_i32 s17, s15, 31
	s_load_b128 s[12:15], s[0:1], 0x10
	s_lshl_b64 s[6:7], s[16:17], 3
	s_waitcnt lgkmcnt(0)
	s_ashr_i32 s21, s20, 31
	s_add_u32 s2, s2, s6
	s_addc_u32 s3, s3, s7
	s_add_u32 s4, s4, s6
	s_addc_u32 s5, s5, s7
	s_load_b64 s[2:3], s[2:3], 0x0
	s_load_b64 s[18:19], s[4:5], 0x0
	s_load_b256 s[4:11], s[0:1], 0x30
	s_waitcnt lgkmcnt(0)
	s_add_u32 s2, s18, s2
	s_addc_u32 s3, s19, s3
	s_mul_i32 s18, s2, s21
	s_mul_hi_u32 s19, s2, s20
	s_mul_i32 s3, s3, s20
	s_add_i32 s18, s19, s18
	s_mul_i32 s2, s2, s20
	s_add_i32 s3, s18, s3
	s_delay_alu instid0(SALU_CYCLE_1) | instskip(NEXT) | instid1(SALU_CYCLE_1)
	s_lshl_b64 s[2:3], s[2:3], 1
	s_add_u32 s14, s14, s2
	s_addc_u32 s15, s15, s3
	s_lshr_b32 s2, s20, 31
	s_delay_alu instid0(SALU_CYCLE_1) | instskip(NEXT) | instid1(SALU_CYCLE_1)
	s_add_i32 s20, s20, s2
	s_ashr_i32 s2, s20, 1
	s_delay_alu instid0(SALU_CYCLE_1) | instskip(SKIP_2) | instid1(SALU_CYCLE_1)
	s_ashr_i32 s3, s2, 31
	s_mul_i32 s19, s2, s10
	s_lshl_b64 s[20:21], s[2:3], 1
	s_add_u32 s10, s14, s20
	s_addc_u32 s18, s15, s21
	s_mov_b32 s20, exec_lo
	v_cmpx_gt_i32_e64 s19, v0
	s_cbranch_execz .LBB9_3
; %bb.1:
	s_load_b64 s[22:23], s[0:1], 0x8
	s_mul_i32 s5, s16, s5
	s_mul_hi_u32 s21, s16, s4
	s_mul_i32 s24, s17, s4
	s_add_i32 s5, s21, s5
	s_mul_i32 s4, s16, s4
	s_add_i32 s5, s5, s24
	s_load_b32 s24, s[0:1], 0x64
	s_lshl_b64 s[4:5], s[4:5], 1
	s_waitcnt lgkmcnt(0)
	s_add_u32 s4, s22, s4
	s_addc_u32 s5, s23, s5
	s_abs_i32 s21, s2
	s_sub_i32 s26, 0, s2
	v_cvt_f32_u32_e32 v1, s21
	s_sub_i32 s22, 0, s21
	s_and_b32 s23, s24, 0xffff
	s_lshl_b32 s24, s2, 1
	s_delay_alu instid0(VALU_DEP_1) | instskip(SKIP_4) | instid1(VALU_DEP_1)
	v_rcp_iflag_f32_e32 v1, v1
	s_sub_i32 s24, 0, s24
	s_lshl_b32 s25, s23, 1
	s_waitcnt_depctr 0xfff
	v_mul_f32_e32 v1, 0x4f7ffffe, v1
	v_cvt_u32_f32_e32 v2, v1
	s_delay_alu instid0(VALU_DEP_1) | instskip(SKIP_1) | instid1(VALU_DEP_1)
	v_mul_lo_u32 v1, s22, v2
	s_mov_b32 s22, 0
	v_mul_hi_u32 v3, v2, v1
	v_lshlrev_b32_e32 v1, 1, v0
	s_delay_alu instid0(VALU_DEP_2)
	v_dual_mov_b32 v2, v0 :: v_dual_add_nc_u32 v3, v2, v3
.LBB9_2:                                ; =>This Inner Loop Header: Depth=1
	s_delay_alu instid0(VALU_DEP_1) | instskip(SKIP_1) | instid1(VALU_DEP_2)
	v_sub_nc_u32_e32 v4, 0, v2
	v_ashrrev_i32_e32 v5, 31, v2
	v_max_i32_e32 v4, v2, v4
	s_delay_alu instid0(VALU_DEP_2) | instskip(NEXT) | instid1(VALU_DEP_2)
	v_xor_b32_e32 v5, s3, v5
	v_mul_hi_u32 v6, v4, v3
	s_delay_alu instid0(VALU_DEP_1) | instskip(SKIP_1) | instid1(VALU_DEP_2)
	v_mul_lo_u32 v7, v6, s21
	v_add_nc_u32_e32 v8, 1, v6
	v_sub_nc_u32_e32 v4, v4, v7
	s_delay_alu instid0(VALU_DEP_1) | instskip(SKIP_1) | instid1(VALU_DEP_4)
	v_subrev_nc_u32_e32 v7, s21, v4
	v_cmp_le_u32_e32 vcc_lo, s21, v4
	v_cndmask_b32_e32 v6, v6, v8, vcc_lo
	s_delay_alu instid0(VALU_DEP_1) | instskip(NEXT) | instid1(VALU_DEP_1)
	v_dual_cndmask_b32 v4, v4, v7 :: v_dual_add_nc_u32 v7, 1, v6
	v_cmp_le_u32_e32 vcc_lo, s21, v4
	s_delay_alu instid0(VALU_DEP_2) | instskip(NEXT) | instid1(VALU_DEP_1)
	v_cndmask_b32_e32 v4, v6, v7, vcc_lo
	v_xor_b32_e32 v4, v4, v5
	s_delay_alu instid0(VALU_DEP_1) | instskip(NEXT) | instid1(VALU_DEP_1)
	v_sub_nc_u32_e32 v10, v4, v5
	v_ashrrev_i32_e32 v11, 31, v10
	v_mad_u64_u32 v[4:5], null, s26, v10, v[2:3]
	v_mul_lo_u32 v12, v10, s9
	v_mad_u64_u32 v[6:7], null, v10, s8, 0
	v_mad_u64_u32 v[8:9], null, s24, v10, v[1:2]
	v_mul_lo_u32 v10, v11, s8
	v_ashrrev_i32_e32 v5, 31, v4
	v_add_nc_u32_e32 v2, s23, v2
	v_add_nc_u32_e32 v1, s25, v1
	s_delay_alu instid0(VALU_DEP_3) | instskip(SKIP_2) | instid1(VALU_DEP_3)
	v_lshlrev_b64 v[4:5], 1, v[4:5]
	v_ashrrev_i32_e32 v9, 31, v8
	v_add3_u32 v7, v7, v12, v10
	v_add_co_u32 v10, vcc_lo, s14, v4
	s_delay_alu instid0(VALU_DEP_2) | instskip(NEXT) | instid1(VALU_DEP_4)
	v_lshlrev_b64 v[6:7], 1, v[6:7]
	v_lshlrev_b64 v[8:9], 1, v[8:9]
	v_add_co_ci_u32_e32 v11, vcc_lo, s15, v5, vcc_lo
	s_delay_alu instid0(VALU_DEP_3) | instskip(NEXT) | instid1(VALU_DEP_4)
	v_add_co_u32 v6, vcc_lo, s4, v6
	v_add_co_ci_u32_e32 v7, vcc_lo, s5, v7, vcc_lo
	s_delay_alu instid0(VALU_DEP_2) | instskip(NEXT) | instid1(VALU_DEP_2)
	v_add_co_u32 v6, vcc_lo, v6, v8
	v_add_co_ci_u32_e32 v7, vcc_lo, v7, v9, vcc_lo
	v_add_co_u32 v4, vcc_lo, s10, v4
	v_add_co_ci_u32_e32 v5, vcc_lo, s18, v5, vcc_lo
	global_load_b32 v8, v[6:7], off
	s_clause 0x1
	global_load_u16 v4, v[4:5], off
	global_load_u16 v5, v[10:11], off
	v_cmp_le_i32_e32 vcc_lo, s19, v2
	s_or_b32 s22, vcc_lo, s22
	s_waitcnt vmcnt(2)
	v_lshrrev_b32_e32 v9, 16, v8
	s_waitcnt vmcnt(1)
	s_delay_alu instid0(VALU_DEP_1) | instskip(SKIP_2) | instid1(VALU_DEP_2)
	v_mul_f16_e32 v10, v4, v9
	s_waitcnt vmcnt(0)
	v_mul_f16_e32 v9, v5, v9
	v_fma_f16 v5, v5, v8, -v10
	s_delay_alu instid0(VALU_DEP_2) | instskip(NEXT) | instid1(VALU_DEP_1)
	v_fmac_f16_e32 v9, v4, v8
	v_pack_b32_f16 v4, v5, v9
	global_store_b32 v[6:7], v4, off
	s_and_not1_b32 exec_lo, exec_lo, s22
	s_cbranch_execnz .LBB9_2
.LBB9_3:
	s_or_b32 exec_lo, exec_lo, s20
	s_cmp_lg_u64 s[12:13], 0
	s_cbranch_scc0 .LBB9_7
; %bb.4:
	s_mul_i32 s4, s2, s11
	s_mov_b32 s5, exec_lo
	v_cmpx_gt_i32_e64 s4, v0
	s_cbranch_execz .LBB9_7
; %bb.5:
	s_mul_i32 s5, s16, s7
	s_mul_hi_u32 s7, s16, s6
	s_load_b32 s1, s[0:1], 0x64
	s_add_i32 s5, s7, s5
	s_mul_i32 s7, s17, s6
	s_mul_i32 s6, s16, s6
	s_add_i32 s7, s5, s7
	s_delay_alu instid0(SALU_CYCLE_1) | instskip(NEXT) | instid1(SALU_CYCLE_1)
	s_lshl_b64 s[6:7], s[6:7], 1
	s_add_u32 s5, s12, s6
	s_addc_u32 s6, s13, s7
	s_abs_i32 s7, s2
	s_lshl_b32 s11, s2, 1
	v_cvt_f32_u32_e32 v1, s7
	s_sub_i32 s0, 0, s7
	s_sub_i32 s11, 0, s11
	s_sub_i32 s2, 0, s2
	s_delay_alu instid0(VALU_DEP_1) | instskip(SKIP_2) | instid1(SALU_CYCLE_1)
	v_rcp_iflag_f32_e32 v1, v1
	s_waitcnt lgkmcnt(0)
	s_and_b32 s1, s1, 0xffff
	s_lshl_b32 s12, s1, 1
	s_waitcnt_depctr 0xfff
	v_mul_f32_e32 v1, 0x4f7ffffe, v1
	s_delay_alu instid0(VALU_DEP_1) | instskip(NEXT) | instid1(VALU_DEP_1)
	v_cvt_u32_f32_e32 v1, v1
	v_mul_lo_u32 v2, s0, v1
	s_mov_b32 s0, 0
	s_delay_alu instid0(VALU_DEP_1) | instskip(NEXT) | instid1(VALU_DEP_1)
	v_mul_hi_u32 v2, v1, v2
	v_add_nc_u32_e32 v2, v1, v2
	v_lshlrev_b32_e32 v1, 1, v0
.LBB9_6:                                ; =>This Inner Loop Header: Depth=1
	v_sub_nc_u32_e32 v3, 0, v0
	v_ashrrev_i32_e32 v4, 31, v0
	s_delay_alu instid0(VALU_DEP_2) | instskip(NEXT) | instid1(VALU_DEP_2)
	v_max_i32_e32 v3, v0, v3
	v_xor_b32_e32 v4, s3, v4
	s_delay_alu instid0(VALU_DEP_2) | instskip(NEXT) | instid1(VALU_DEP_1)
	v_mul_hi_u32 v5, v3, v2
	v_mul_lo_u32 v6, v5, s7
	v_add_nc_u32_e32 v7, 1, v5
	s_delay_alu instid0(VALU_DEP_2) | instskip(NEXT) | instid1(VALU_DEP_1)
	v_sub_nc_u32_e32 v3, v3, v6
	v_subrev_nc_u32_e32 v6, s7, v3
	v_cmp_le_u32_e32 vcc_lo, s7, v3
	s_delay_alu instid0(VALU_DEP_4) | instskip(NEXT) | instid1(VALU_DEP_1)
	v_cndmask_b32_e32 v5, v5, v7, vcc_lo
	v_dual_cndmask_b32 v3, v3, v6 :: v_dual_add_nc_u32 v6, 1, v5
	s_delay_alu instid0(VALU_DEP_1) | instskip(NEXT) | instid1(VALU_DEP_2)
	v_cmp_le_u32_e32 vcc_lo, s7, v3
	v_cndmask_b32_e32 v3, v5, v6, vcc_lo
	s_delay_alu instid0(VALU_DEP_1) | instskip(NEXT) | instid1(VALU_DEP_1)
	v_xor_b32_e32 v3, v3, v4
	v_sub_nc_u32_e32 v9, v3, v4
	s_delay_alu instid0(VALU_DEP_1)
	v_ashrrev_i32_e32 v10, 31, v9
	v_mad_u64_u32 v[3:4], null, s2, v9, v[0:1]
	v_mul_lo_u32 v11, v9, s9
	v_mad_u64_u32 v[5:6], null, v9, s8, 0
	v_mad_u64_u32 v[7:8], null, s11, v9, v[1:2]
	v_mul_lo_u32 v9, v10, s8
	v_ashrrev_i32_e32 v4, 31, v3
	v_add_nc_u32_e32 v0, s1, v0
	v_add_nc_u32_e32 v1, s12, v1
	s_delay_alu instid0(VALU_DEP_3) | instskip(SKIP_2) | instid1(VALU_DEP_3)
	v_lshlrev_b64 v[3:4], 1, v[3:4]
	v_ashrrev_i32_e32 v8, 31, v7
	v_add3_u32 v6, v6, v11, v9
	v_add_co_u32 v9, vcc_lo, s14, v3
	s_delay_alu instid0(VALU_DEP_2) | instskip(NEXT) | instid1(VALU_DEP_4)
	v_lshlrev_b64 v[5:6], 1, v[5:6]
	v_lshlrev_b64 v[7:8], 1, v[7:8]
	v_add_co_ci_u32_e32 v10, vcc_lo, s15, v4, vcc_lo
	s_delay_alu instid0(VALU_DEP_3) | instskip(NEXT) | instid1(VALU_DEP_4)
	v_add_co_u32 v5, vcc_lo, s5, v5
	v_add_co_ci_u32_e32 v6, vcc_lo, s6, v6, vcc_lo
	s_delay_alu instid0(VALU_DEP_2) | instskip(NEXT) | instid1(VALU_DEP_2)
	v_add_co_u32 v5, vcc_lo, v5, v7
	v_add_co_ci_u32_e32 v6, vcc_lo, v6, v8, vcc_lo
	v_add_co_u32 v3, vcc_lo, s10, v3
	v_add_co_ci_u32_e32 v4, vcc_lo, s18, v4, vcc_lo
	global_load_b32 v7, v[5:6], off
	s_clause 0x1
	global_load_u16 v3, v[3:4], off
	global_load_u16 v4, v[9:10], off
	v_cmp_le_i32_e32 vcc_lo, s4, v0
	s_or_b32 s0, vcc_lo, s0
	s_waitcnt vmcnt(2)
	v_lshrrev_b32_e32 v8, 16, v7
	s_waitcnt vmcnt(1)
	s_delay_alu instid0(VALU_DEP_1) | instskip(SKIP_2) | instid1(VALU_DEP_2)
	v_mul_f16_e32 v9, v3, v8
	s_waitcnt vmcnt(0)
	v_mul_f16_e32 v8, v4, v8
	v_fma_f16 v4, v4, v7, -v9
	s_delay_alu instid0(VALU_DEP_2) | instskip(NEXT) | instid1(VALU_DEP_1)
	v_fmac_f16_e32 v8, v3, v7
	v_pack_b32_f16 v3, v4, v8
	global_store_b32 v[5:6], v3, off
	s_and_not1_b32 exec_lo, exec_lo, s0
	s_cbranch_execnz .LBB9_6
.LBB9_7:
	s_nop 0
	s_sendmsg sendmsg(MSG_DEALLOC_VGPRS)
	s_endpgm
	.section	.rodata,"a",@progbits
	.p2align	6, 0x0
	.amdhsa_kernel _ZN4vllm31batched_rotary_embedding_kernelIN3c104HalfELb0EEEvPKlPT_S6_PKS5_S4_illliii
		.amdhsa_group_segment_fixed_size 0
		.amdhsa_private_segment_fixed_size 0
		.amdhsa_kernarg_size 344
		.amdhsa_user_sgpr_count 15
		.amdhsa_user_sgpr_dispatch_ptr 0
		.amdhsa_user_sgpr_queue_ptr 0
		.amdhsa_user_sgpr_kernarg_segment_ptr 1
		.amdhsa_user_sgpr_dispatch_id 0
		.amdhsa_user_sgpr_private_segment_size 0
		.amdhsa_wavefront_size32 1
		.amdhsa_uses_dynamic_stack 0
		.amdhsa_enable_private_segment 0
		.amdhsa_system_sgpr_workgroup_id_x 1
		.amdhsa_system_sgpr_workgroup_id_y 0
		.amdhsa_system_sgpr_workgroup_id_z 0
		.amdhsa_system_sgpr_workgroup_info 0
		.amdhsa_system_vgpr_workitem_id 0
		.amdhsa_next_free_vgpr 13
		.amdhsa_next_free_sgpr 27
		.amdhsa_reserve_vcc 1
		.amdhsa_float_round_mode_32 0
		.amdhsa_float_round_mode_16_64 0
		.amdhsa_float_denorm_mode_32 3
		.amdhsa_float_denorm_mode_16_64 3
		.amdhsa_dx10_clamp 1
		.amdhsa_ieee_mode 1
		.amdhsa_fp16_overflow 0
		.amdhsa_workgroup_processor_mode 1
		.amdhsa_memory_ordered 1
		.amdhsa_forward_progress 0
		.amdhsa_shared_vgpr_count 0
		.amdhsa_exception_fp_ieee_invalid_op 0
		.amdhsa_exception_fp_denorm_src 0
		.amdhsa_exception_fp_ieee_div_zero 0
		.amdhsa_exception_fp_ieee_overflow 0
		.amdhsa_exception_fp_ieee_underflow 0
		.amdhsa_exception_fp_ieee_inexact 0
		.amdhsa_exception_int_div_zero 0
	.end_amdhsa_kernel
	.section	.text._ZN4vllm31batched_rotary_embedding_kernelIN3c104HalfELb0EEEvPKlPT_S6_PKS5_S4_illliii,"axG",@progbits,_ZN4vllm31batched_rotary_embedding_kernelIN3c104HalfELb0EEEvPKlPT_S6_PKS5_S4_illliii,comdat
.Lfunc_end9:
	.size	_ZN4vllm31batched_rotary_embedding_kernelIN3c104HalfELb0EEEvPKlPT_S6_PKS5_S4_illliii, .Lfunc_end9-_ZN4vllm31batched_rotary_embedding_kernelIN3c104HalfELb0EEEvPKlPT_S6_PKS5_S4_illliii
                                        ; -- End function
	.section	.AMDGPU.csdata,"",@progbits
; Kernel info:
; codeLenInByte = 1280
; NumSgprs: 29
; NumVgprs: 13
; ScratchSize: 0
; MemoryBound: 0
; FloatMode: 240
; IeeeMode: 1
; LDSByteSize: 0 bytes/workgroup (compile time only)
; SGPRBlocks: 3
; VGPRBlocks: 1
; NumSGPRsForWavesPerEU: 29
; NumVGPRsForWavesPerEU: 13
; Occupancy: 16
; WaveLimiterHint : 1
; COMPUTE_PGM_RSRC2:SCRATCH_EN: 0
; COMPUTE_PGM_RSRC2:USER_SGPR: 15
; COMPUTE_PGM_RSRC2:TRAP_HANDLER: 0
; COMPUTE_PGM_RSRC2:TGID_X_EN: 1
; COMPUTE_PGM_RSRC2:TGID_Y_EN: 0
; COMPUTE_PGM_RSRC2:TGID_Z_EN: 0
; COMPUTE_PGM_RSRC2:TIDIG_COMP_CNT: 0
	.section	.text._ZN4vllm31batched_rotary_embedding_kernelIN3c108BFloat16ELb1EEEvPKlPT_S6_PKS5_S4_illliii,"axG",@progbits,_ZN4vllm31batched_rotary_embedding_kernelIN3c108BFloat16ELb1EEEvPKlPT_S6_PKS5_S4_illliii,comdat
	.protected	_ZN4vllm31batched_rotary_embedding_kernelIN3c108BFloat16ELb1EEEvPKlPT_S6_PKS5_S4_illliii ; -- Begin function _ZN4vllm31batched_rotary_embedding_kernelIN3c108BFloat16ELb1EEEvPKlPT_S6_PKS5_S4_illliii
	.globl	_ZN4vllm31batched_rotary_embedding_kernelIN3c108BFloat16ELb1EEEvPKlPT_S6_PKS5_S4_illliii
	.p2align	8
	.type	_ZN4vllm31batched_rotary_embedding_kernelIN3c108BFloat16ELb1EEEvPKlPT_S6_PKS5_S4_illliii,@function
_ZN4vllm31batched_rotary_embedding_kernelIN3c108BFloat16ELb1EEEvPKlPT_S6_PKS5_S4_illliii: ; @_ZN4vllm31batched_rotary_embedding_kernelIN3c108BFloat16ELb1EEEvPKlPT_S6_PKS5_S4_illliii
; %bb.0:
	s_clause 0x2
	s_load_b32 s22, s[0:1], 0x28
	s_load_b64 s[2:3], s[0:1], 0x0
	s_load_b64 s[4:5], s[0:1], 0x20
	s_mov_b32 s16, s15
	s_ashr_i32 s17, s15, 31
	s_load_b128 s[12:15], s[0:1], 0x10
	s_lshl_b64 s[6:7], s[16:17], 3
	s_mov_b32 s23, exec_lo
	s_waitcnt lgkmcnt(0)
	s_ashr_i32 s20, s22, 31
	s_add_u32 s2, s2, s6
	s_addc_u32 s3, s3, s7
	s_add_u32 s4, s4, s6
	s_addc_u32 s5, s5, s7
	s_load_b64 s[2:3], s[2:3], 0x0
	s_load_b64 s[18:19], s[4:5], 0x0
	s_load_b256 s[4:11], s[0:1], 0x30
	s_waitcnt lgkmcnt(0)
	s_add_u32 s2, s18, s2
	s_addc_u32 s3, s19, s3
	s_mul_i32 s18, s2, s20
	s_mul_hi_u32 s19, s2, s22
	s_mul_i32 s3, s3, s22
	s_add_i32 s18, s19, s18
	s_mul_i32 s2, s2, s22
	s_add_i32 s3, s18, s3
	s_delay_alu instid0(SALU_CYCLE_1) | instskip(NEXT) | instid1(SALU_CYCLE_1)
	s_lshl_b64 s[2:3], s[2:3], 1
	s_add_u32 s20, s14, s2
	s_addc_u32 s21, s15, s3
	s_lshr_b32 s2, s22, 31
	s_delay_alu instid0(SALU_CYCLE_1) | instskip(NEXT) | instid1(SALU_CYCLE_1)
	s_add_i32 s22, s22, s2
	s_ashr_i32 s18, s22, 1
	s_delay_alu instid0(SALU_CYCLE_1) | instskip(SKIP_2) | instid1(SALU_CYCLE_1)
	s_ashr_i32 s19, s18, 31
	s_mul_i32 s22, s18, s10
	s_lshl_b64 s[14:15], s[18:19], 1
	s_add_u32 s10, s20, s14
	s_addc_u32 s19, s21, s15
	v_cmpx_gt_i32_e64 s22, v0
	s_cbranch_execz .LBB10_3
; %bb.1:
	s_load_b64 s[2:3], s[0:1], 0x8
	s_mul_i32 s5, s16, s5
	s_mul_hi_u32 s24, s16, s4
	s_mul_i32 s25, s17, s4
	s_add_i32 s5, s24, s5
	s_mul_i32 s4, s16, s4
	s_add_i32 s5, s5, s25
	s_load_b32 s25, s[0:1], 0x64
	s_lshl_b64 s[4:5], s[4:5], 1
	s_mov_b32 s27, 0
	s_waitcnt lgkmcnt(0)
	s_add_u32 s4, s2, s4
	s_addc_u32 s5, s3, s5
	s_abs_i32 s24, s18
	s_ashr_i32 s26, s18, 31
	v_cvt_f32_u32_e32 v1, s24
	s_sub_i32 s2, 0, s24
	s_sub_i32 s28, 0, s18
	s_and_b32 s25, s25, 0xffff
	s_delay_alu instid0(VALU_DEP_1) | instskip(SKIP_2) | instid1(VALU_DEP_1)
	v_rcp_iflag_f32_e32 v1, v1
	s_waitcnt_depctr 0xfff
	v_mul_f32_e32 v1, 0x4f7ffffe, v1
	v_cvt_u32_f32_e32 v1, v1
	s_delay_alu instid0(VALU_DEP_1) | instskip(NEXT) | instid1(VALU_DEP_1)
	v_mul_lo_u32 v2, s2, v1
	v_mul_hi_u32 v2, v1, v2
	s_delay_alu instid0(VALU_DEP_1)
	v_dual_mov_b32 v1, v0 :: v_dual_add_nc_u32 v2, v1, v2
.LBB10_2:                               ; =>This Inner Loop Header: Depth=1
	s_delay_alu instid0(VALU_DEP_1) | instskip(SKIP_1) | instid1(VALU_DEP_2)
	v_sub_nc_u32_e32 v3, 0, v1
	v_ashrrev_i32_e32 v4, 31, v1
	v_max_i32_e32 v3, v1, v3
	s_delay_alu instid0(VALU_DEP_2) | instskip(NEXT) | instid1(VALU_DEP_2)
	v_xor_b32_e32 v4, s26, v4
	v_mul_hi_u32 v5, v3, v2
	s_delay_alu instid0(VALU_DEP_1) | instskip(SKIP_1) | instid1(VALU_DEP_2)
	v_mul_lo_u32 v6, v5, s24
	v_add_nc_u32_e32 v7, 1, v5
	v_sub_nc_u32_e32 v3, v3, v6
	s_delay_alu instid0(VALU_DEP_1) | instskip(SKIP_1) | instid1(VALU_DEP_4)
	v_subrev_nc_u32_e32 v6, s24, v3
	v_cmp_le_u32_e32 vcc_lo, s24, v3
	v_cndmask_b32_e32 v5, v5, v7, vcc_lo
	s_delay_alu instid0(VALU_DEP_1) | instskip(NEXT) | instid1(VALU_DEP_1)
	v_dual_cndmask_b32 v3, v3, v6 :: v_dual_add_nc_u32 v6, 1, v5
	v_cmp_le_u32_e32 vcc_lo, s24, v3
	s_delay_alu instid0(VALU_DEP_2) | instskip(NEXT) | instid1(VALU_DEP_1)
	v_cndmask_b32_e32 v3, v5, v6, vcc_lo
	v_xor_b32_e32 v3, v3, v4
	s_delay_alu instid0(VALU_DEP_1) | instskip(NEXT) | instid1(VALU_DEP_1)
	v_sub_nc_u32_e32 v7, v3, v4
	v_mad_u64_u32 v[3:4], null, s28, v7, v[1:2]
	v_ashrrev_i32_e32 v8, 31, v7
	v_mul_lo_u32 v9, v7, s9
	v_mad_u64_u32 v[5:6], null, v7, s8, 0
	v_add_nc_u32_e32 v1, s25, v1
	s_delay_alu instid0(VALU_DEP_4) | instskip(SKIP_1) | instid1(VALU_DEP_1)
	v_mul_lo_u32 v7, v8, s8
	v_ashrrev_i32_e32 v4, 31, v3
	v_lshlrev_b64 v[3:4], 1, v[3:4]
	s_delay_alu instid0(VALU_DEP_3) | instskip(NEXT) | instid1(VALU_DEP_2)
	v_add3_u32 v6, v6, v9, v7
	v_add_co_u32 v7, vcc_lo, s20, v3
	s_delay_alu instid0(VALU_DEP_2) | instskip(NEXT) | instid1(VALU_DEP_4)
	v_lshlrev_b64 v[5:6], 1, v[5:6]
	v_add_co_ci_u32_e32 v8, vcc_lo, s21, v4, vcc_lo
	v_add_co_u32 v9, vcc_lo, s10, v3
	v_add_co_ci_u32_e32 v10, vcc_lo, s19, v4, vcc_lo
	s_delay_alu instid0(VALU_DEP_4)
	v_add_co_u32 v5, vcc_lo, s4, v5
	v_add_co_ci_u32_e32 v6, vcc_lo, s5, v6, vcc_lo
	s_clause 0x1
	global_load_u16 v7, v[7:8], off
	global_load_u16 v8, v[9:10], off
	v_add_co_u32 v3, vcc_lo, v5, v3
	v_add_co_ci_u32_e32 v4, vcc_lo, v6, v4, vcc_lo
	s_delay_alu instid0(VALU_DEP_2) | instskip(NEXT) | instid1(VALU_DEP_2)
	v_add_co_u32 v5, vcc_lo, v3, s14
	v_add_co_ci_u32_e32 v6, vcc_lo, s15, v4, vcc_lo
	s_clause 0x1
	global_load_u16 v9, v[3:4], off
	global_load_u16 v10, v[5:6], off
	s_waitcnt vmcnt(3)
	v_lshlrev_b32_e32 v7, 16, v7
	s_waitcnt vmcnt(2)
	v_lshlrev_b32_e32 v8, 16, v8
	s_waitcnt vmcnt(1)
	v_lshlrev_b32_e32 v9, 16, v9
	s_waitcnt vmcnt(0)
	s_delay_alu instid0(VALU_DEP_1) | instskip(SKIP_1) | instid1(VALU_DEP_2)
	v_dual_mul_f32 v11, v7, v9 :: v_dual_lshlrev_b32 v10, 16, v10
	v_mul_f32_e32 v9, v8, v9
	v_mul_f32_e32 v8, v8, v10
	;; [unrolled: 1-line block ×3, first 2 shown]
	s_delay_alu instid0(VALU_DEP_4) | instskip(NEXT) | instid1(VALU_DEP_4)
	v_bfe_u32 v12, v11, 16, 1
	v_bfe_u32 v10, v9, 16, 1
	s_delay_alu instid0(VALU_DEP_4) | instskip(NEXT) | instid1(VALU_DEP_4)
	v_bfe_u32 v13, v8, 16, 1
	v_bfe_u32 v14, v7, 16, 1
	v_cmp_o_f32_e64 s2, v11, v11
	v_add3_u32 v12, v11, v12, 0x7fff
	v_add3_u32 v10, v9, v10, 0x7fff
	;; [unrolled: 1-line block ×4, first 2 shown]
	s_delay_alu instid0(VALU_DEP_4) | instskip(NEXT) | instid1(VALU_DEP_4)
	v_and_b32_e32 v12, 0xffff0000, v12
	v_and_b32_e32 v10, 0xffff0000, v10
	v_cmp_o_f32_e32 vcc_lo, v9, v9
	v_and_b32_e32 v9, 0xffff0000, v13
	s_delay_alu instid0(VALU_DEP_4) | instskip(SKIP_3) | instid1(VALU_DEP_3)
	v_cndmask_b32_e64 v11, 0x7fc00000, v12, s2
	v_cmp_o_f32_e64 s2, v8, v8
	v_cndmask_b32_e32 v10, 0x7fc00000, v10, vcc_lo
	v_cmp_o_f32_e32 vcc_lo, v7, v7
	v_cndmask_b32_e64 v7, 0x7fc00000, v9, s2
	s_delay_alu instid0(VALU_DEP_1) | instskip(NEXT) | instid1(VALU_DEP_1)
	v_dual_sub_f32 v7, v11, v7 :: v_dual_and_b32 v12, 0xffff0000, v14
	v_cndmask_b32_e32 v8, 0x7fc00000, v12, vcc_lo
	v_cmp_le_i32_e32 vcc_lo, s22, v1
	s_delay_alu instid0(VALU_DEP_3) | instskip(NEXT) | instid1(VALU_DEP_3)
	v_bfe_u32 v9, v7, 16, 1
	v_add_f32_e32 v8, v10, v8
	v_cmp_o_f32_e64 s3, v7, v7
	s_or_b32 s27, vcc_lo, s27
	s_delay_alu instid0(VALU_DEP_3) | instskip(NEXT) | instid1(VALU_DEP_3)
	v_add3_u32 v9, v7, v9, 0x7fff
	v_bfe_u32 v10, v8, 16, 1
	v_cmp_o_f32_e64 s2, v8, v8
	s_delay_alu instid0(VALU_DEP_3) | instskip(NEXT) | instid1(VALU_DEP_3)
	v_lshrrev_b32_e32 v9, 16, v9
	v_add3_u32 v10, v8, v10, 0x7fff
	s_delay_alu instid0(VALU_DEP_2) | instskip(NEXT) | instid1(VALU_DEP_2)
	v_cndmask_b32_e64 v7, 0x7fc0, v9, s3
	v_lshrrev_b32_e32 v10, 16, v10
	s_delay_alu instid0(VALU_DEP_1)
	v_cndmask_b32_e64 v8, 0x7fc0, v10, s2
	s_clause 0x1
	global_store_b16 v[3:4], v7, off
	global_store_b16 v[5:6], v8, off
	s_and_not1_b32 exec_lo, exec_lo, s27
	s_cbranch_execnz .LBB10_2
.LBB10_3:
	s_or_b32 exec_lo, exec_lo, s23
	s_cmp_lg_u64 s[12:13], 0
	s_cbranch_scc0 .LBB10_7
; %bb.4:
	s_mul_i32 s2, s18, s11
	s_mov_b32 s3, exec_lo
	v_cmpx_gt_i32_e64 s2, v0
	s_cbranch_execz .LBB10_7
; %bb.5:
	s_mul_i32 s3, s16, s7
	s_mul_hi_u32 s4, s16, s6
	s_mul_i32 s5, s17, s6
	s_add_i32 s3, s4, s3
	s_mul_i32 s4, s16, s6
	s_add_i32 s5, s3, s5
	s_load_b32 s0, s[0:1], 0x64
	s_lshl_b64 s[4:5], s[4:5], 1
	s_mov_b32 s11, 0
	s_add_u32 s3, s12, s4
	s_addc_u32 s4, s13, s5
	s_abs_i32 s5, s18
	s_ashr_i32 s7, s18, 31
	v_cvt_f32_u32_e32 v1, s5
	s_sub_i32 s1, 0, s5
	s_sub_i32 s12, 0, s18
	s_delay_alu instid0(VALU_DEP_1) | instskip(SKIP_4) | instid1(VALU_DEP_1)
	v_rcp_iflag_f32_e32 v1, v1
	s_waitcnt lgkmcnt(0)
	s_and_b32 s6, s0, 0xffff
	s_waitcnt_depctr 0xfff
	v_mul_f32_e32 v1, 0x4f7ffffe, v1
	v_cvt_u32_f32_e32 v1, v1
	s_delay_alu instid0(VALU_DEP_1) | instskip(NEXT) | instid1(VALU_DEP_1)
	v_mul_lo_u32 v2, s1, v1
	v_mul_hi_u32 v2, v1, v2
	s_delay_alu instid0(VALU_DEP_1)
	v_add_nc_u32_e32 v1, v1, v2
.LBB10_6:                               ; =>This Inner Loop Header: Depth=1
	v_sub_nc_u32_e32 v2, 0, v0
	v_ashrrev_i32_e32 v3, 31, v0
	s_delay_alu instid0(VALU_DEP_2) | instskip(NEXT) | instid1(VALU_DEP_2)
	v_max_i32_e32 v2, v0, v2
	v_xor_b32_e32 v3, s7, v3
	s_delay_alu instid0(VALU_DEP_2) | instskip(NEXT) | instid1(VALU_DEP_1)
	v_mul_hi_u32 v4, v2, v1
	v_mul_lo_u32 v5, v4, s5
	v_add_nc_u32_e32 v6, 1, v4
	s_delay_alu instid0(VALU_DEP_2) | instskip(NEXT) | instid1(VALU_DEP_1)
	v_sub_nc_u32_e32 v2, v2, v5
	v_subrev_nc_u32_e32 v5, s5, v2
	v_cmp_le_u32_e32 vcc_lo, s5, v2
	s_delay_alu instid0(VALU_DEP_4) | instskip(NEXT) | instid1(VALU_DEP_1)
	v_cndmask_b32_e32 v4, v4, v6, vcc_lo
	v_dual_cndmask_b32 v2, v2, v5 :: v_dual_add_nc_u32 v5, 1, v4
	s_delay_alu instid0(VALU_DEP_1) | instskip(NEXT) | instid1(VALU_DEP_2)
	v_cmp_le_u32_e32 vcc_lo, s5, v2
	v_cndmask_b32_e32 v2, v4, v5, vcc_lo
	s_delay_alu instid0(VALU_DEP_1) | instskip(NEXT) | instid1(VALU_DEP_1)
	v_xor_b32_e32 v2, v2, v3
	v_sub_nc_u32_e32 v6, v2, v3
	s_delay_alu instid0(VALU_DEP_1) | instskip(SKIP_4) | instid1(VALU_DEP_4)
	v_mad_u64_u32 v[2:3], null, s12, v6, v[0:1]
	v_ashrrev_i32_e32 v7, 31, v6
	v_mul_lo_u32 v8, v6, s9
	v_mad_u64_u32 v[4:5], null, v6, s8, 0
	v_add_nc_u32_e32 v0, s6, v0
	v_mul_lo_u32 v6, v7, s8
	v_ashrrev_i32_e32 v3, 31, v2
	s_delay_alu instid0(VALU_DEP_1) | instskip(NEXT) | instid1(VALU_DEP_3)
	v_lshlrev_b64 v[2:3], 1, v[2:3]
	v_add3_u32 v5, v5, v8, v6
	s_delay_alu instid0(VALU_DEP_2) | instskip(NEXT) | instid1(VALU_DEP_2)
	v_add_co_u32 v6, vcc_lo, s20, v2
	v_lshlrev_b64 v[4:5], 1, v[4:5]
	s_delay_alu instid0(VALU_DEP_4) | instskip(SKIP_2) | instid1(VALU_DEP_4)
	v_add_co_ci_u32_e32 v7, vcc_lo, s21, v3, vcc_lo
	v_add_co_u32 v8, vcc_lo, s10, v2
	v_add_co_ci_u32_e32 v9, vcc_lo, s19, v3, vcc_lo
	v_add_co_u32 v4, vcc_lo, s3, v4
	v_add_co_ci_u32_e32 v5, vcc_lo, s4, v5, vcc_lo
	s_clause 0x1
	global_load_u16 v6, v[6:7], off
	global_load_u16 v7, v[8:9], off
	v_add_co_u32 v2, vcc_lo, v4, v2
	v_add_co_ci_u32_e32 v3, vcc_lo, v5, v3, vcc_lo
	s_delay_alu instid0(VALU_DEP_2) | instskip(NEXT) | instid1(VALU_DEP_2)
	v_add_co_u32 v4, vcc_lo, v2, s14
	v_add_co_ci_u32_e32 v5, vcc_lo, s15, v3, vcc_lo
	s_clause 0x1
	global_load_u16 v8, v[2:3], off
	global_load_u16 v9, v[4:5], off
	s_waitcnt vmcnt(3)
	v_lshlrev_b32_e32 v6, 16, v6
	s_waitcnt vmcnt(2)
	v_lshlrev_b32_e32 v7, 16, v7
	;; [unrolled: 2-line block ×3, first 2 shown]
	s_waitcnt vmcnt(0)
	s_delay_alu instid0(VALU_DEP_1) | instskip(SKIP_1) | instid1(VALU_DEP_2)
	v_dual_mul_f32 v10, v6, v8 :: v_dual_lshlrev_b32 v9, 16, v9
	v_mul_f32_e32 v8, v7, v8
	v_mul_f32_e32 v7, v7, v9
	;; [unrolled: 1-line block ×3, first 2 shown]
	s_delay_alu instid0(VALU_DEP_4) | instskip(NEXT) | instid1(VALU_DEP_4)
	v_bfe_u32 v11, v10, 16, 1
	v_bfe_u32 v9, v8, 16, 1
	s_delay_alu instid0(VALU_DEP_4) | instskip(NEXT) | instid1(VALU_DEP_4)
	v_bfe_u32 v12, v7, 16, 1
	v_bfe_u32 v13, v6, 16, 1
	v_cmp_o_f32_e64 s0, v10, v10
	v_add3_u32 v11, v10, v11, 0x7fff
	v_add3_u32 v9, v8, v9, 0x7fff
	;; [unrolled: 1-line block ×4, first 2 shown]
	s_delay_alu instid0(VALU_DEP_4) | instskip(NEXT) | instid1(VALU_DEP_4)
	v_and_b32_e32 v11, 0xffff0000, v11
	v_and_b32_e32 v9, 0xffff0000, v9
	v_cmp_o_f32_e32 vcc_lo, v8, v8
	v_and_b32_e32 v8, 0xffff0000, v12
	s_delay_alu instid0(VALU_DEP_4) | instskip(SKIP_3) | instid1(VALU_DEP_3)
	v_cndmask_b32_e64 v10, 0x7fc00000, v11, s0
	v_cmp_o_f32_e64 s0, v7, v7
	v_cndmask_b32_e32 v9, 0x7fc00000, v9, vcc_lo
	v_cmp_o_f32_e32 vcc_lo, v6, v6
	v_cndmask_b32_e64 v6, 0x7fc00000, v8, s0
	s_delay_alu instid0(VALU_DEP_1) | instskip(NEXT) | instid1(VALU_DEP_1)
	v_dual_sub_f32 v6, v10, v6 :: v_dual_and_b32 v11, 0xffff0000, v13
	v_cndmask_b32_e32 v7, 0x7fc00000, v11, vcc_lo
	v_cmp_le_i32_e32 vcc_lo, s2, v0
	s_delay_alu instid0(VALU_DEP_3) | instskip(NEXT) | instid1(VALU_DEP_3)
	v_bfe_u32 v8, v6, 16, 1
	v_add_f32_e32 v7, v9, v7
	v_cmp_o_f32_e64 s1, v6, v6
	s_or_b32 s11, vcc_lo, s11
	s_delay_alu instid0(VALU_DEP_3) | instskip(NEXT) | instid1(VALU_DEP_3)
	v_add3_u32 v8, v6, v8, 0x7fff
	v_bfe_u32 v9, v7, 16, 1
	v_cmp_o_f32_e64 s0, v7, v7
	s_delay_alu instid0(VALU_DEP_3) | instskip(NEXT) | instid1(VALU_DEP_3)
	v_lshrrev_b32_e32 v8, 16, v8
	v_add3_u32 v9, v7, v9, 0x7fff
	s_delay_alu instid0(VALU_DEP_2) | instskip(NEXT) | instid1(VALU_DEP_2)
	v_cndmask_b32_e64 v6, 0x7fc0, v8, s1
	v_lshrrev_b32_e32 v9, 16, v9
	s_delay_alu instid0(VALU_DEP_1)
	v_cndmask_b32_e64 v7, 0x7fc0, v9, s0
	s_clause 0x1
	global_store_b16 v[2:3], v6, off
	global_store_b16 v[4:5], v7, off
	s_and_not1_b32 exec_lo, exec_lo, s11
	s_cbranch_execnz .LBB10_6
.LBB10_7:
	s_nop 0
	s_sendmsg sendmsg(MSG_DEALLOC_VGPRS)
	s_endpgm
	.section	.rodata,"a",@progbits
	.p2align	6, 0x0
	.amdhsa_kernel _ZN4vllm31batched_rotary_embedding_kernelIN3c108BFloat16ELb1EEEvPKlPT_S6_PKS5_S4_illliii
		.amdhsa_group_segment_fixed_size 0
		.amdhsa_private_segment_fixed_size 0
		.amdhsa_kernarg_size 344
		.amdhsa_user_sgpr_count 15
		.amdhsa_user_sgpr_dispatch_ptr 0
		.amdhsa_user_sgpr_queue_ptr 0
		.amdhsa_user_sgpr_kernarg_segment_ptr 1
		.amdhsa_user_sgpr_dispatch_id 0
		.amdhsa_user_sgpr_private_segment_size 0
		.amdhsa_wavefront_size32 1
		.amdhsa_uses_dynamic_stack 0
		.amdhsa_enable_private_segment 0
		.amdhsa_system_sgpr_workgroup_id_x 1
		.amdhsa_system_sgpr_workgroup_id_y 0
		.amdhsa_system_sgpr_workgroup_id_z 0
		.amdhsa_system_sgpr_workgroup_info 0
		.amdhsa_system_vgpr_workitem_id 0
		.amdhsa_next_free_vgpr 15
		.amdhsa_next_free_sgpr 29
		.amdhsa_reserve_vcc 1
		.amdhsa_float_round_mode_32 0
		.amdhsa_float_round_mode_16_64 0
		.amdhsa_float_denorm_mode_32 3
		.amdhsa_float_denorm_mode_16_64 3
		.amdhsa_dx10_clamp 1
		.amdhsa_ieee_mode 1
		.amdhsa_fp16_overflow 0
		.amdhsa_workgroup_processor_mode 1
		.amdhsa_memory_ordered 1
		.amdhsa_forward_progress 0
		.amdhsa_shared_vgpr_count 0
		.amdhsa_exception_fp_ieee_invalid_op 0
		.amdhsa_exception_fp_denorm_src 0
		.amdhsa_exception_fp_ieee_div_zero 0
		.amdhsa_exception_fp_ieee_overflow 0
		.amdhsa_exception_fp_ieee_underflow 0
		.amdhsa_exception_fp_ieee_inexact 0
		.amdhsa_exception_int_div_zero 0
	.end_amdhsa_kernel
	.section	.text._ZN4vllm31batched_rotary_embedding_kernelIN3c108BFloat16ELb1EEEvPKlPT_S6_PKS5_S4_illliii,"axG",@progbits,_ZN4vllm31batched_rotary_embedding_kernelIN3c108BFloat16ELb1EEEvPKlPT_S6_PKS5_S4_illliii,comdat
.Lfunc_end10:
	.size	_ZN4vllm31batched_rotary_embedding_kernelIN3c108BFloat16ELb1EEEvPKlPT_S6_PKS5_S4_illliii, .Lfunc_end10-_ZN4vllm31batched_rotary_embedding_kernelIN3c108BFloat16ELb1EEEvPKlPT_S6_PKS5_S4_illliii
                                        ; -- End function
	.section	.AMDGPU.csdata,"",@progbits
; Kernel info:
; codeLenInByte = 1904
; NumSgprs: 31
; NumVgprs: 15
; ScratchSize: 0
; MemoryBound: 0
; FloatMode: 240
; IeeeMode: 1
; LDSByteSize: 0 bytes/workgroup (compile time only)
; SGPRBlocks: 3
; VGPRBlocks: 1
; NumSGPRsForWavesPerEU: 31
; NumVGPRsForWavesPerEU: 15
; Occupancy: 16
; WaveLimiterHint : 1
; COMPUTE_PGM_RSRC2:SCRATCH_EN: 0
; COMPUTE_PGM_RSRC2:USER_SGPR: 15
; COMPUTE_PGM_RSRC2:TRAP_HANDLER: 0
; COMPUTE_PGM_RSRC2:TGID_X_EN: 1
; COMPUTE_PGM_RSRC2:TGID_Y_EN: 0
; COMPUTE_PGM_RSRC2:TGID_Z_EN: 0
; COMPUTE_PGM_RSRC2:TIDIG_COMP_CNT: 0
	.section	.text._ZN4vllm31batched_rotary_embedding_kernelIN3c108BFloat16ELb0EEEvPKlPT_S6_PKS5_S4_illliii,"axG",@progbits,_ZN4vllm31batched_rotary_embedding_kernelIN3c108BFloat16ELb0EEEvPKlPT_S6_PKS5_S4_illliii,comdat
	.protected	_ZN4vllm31batched_rotary_embedding_kernelIN3c108BFloat16ELb0EEEvPKlPT_S6_PKS5_S4_illliii ; -- Begin function _ZN4vllm31batched_rotary_embedding_kernelIN3c108BFloat16ELb0EEEvPKlPT_S6_PKS5_S4_illliii
	.globl	_ZN4vllm31batched_rotary_embedding_kernelIN3c108BFloat16ELb0EEEvPKlPT_S6_PKS5_S4_illliii
	.p2align	8
	.type	_ZN4vllm31batched_rotary_embedding_kernelIN3c108BFloat16ELb0EEEvPKlPT_S6_PKS5_S4_illliii,@function
_ZN4vllm31batched_rotary_embedding_kernelIN3c108BFloat16ELb0EEEvPKlPT_S6_PKS5_S4_illliii: ; @_ZN4vllm31batched_rotary_embedding_kernelIN3c108BFloat16ELb0EEEvPKlPT_S6_PKS5_S4_illliii
; %bb.0:
	s_clause 0x2
	s_load_b32 s20, s[0:1], 0x28
	s_load_b64 s[2:3], s[0:1], 0x0
	s_load_b64 s[4:5], s[0:1], 0x20
	s_mov_b32 s16, s15
	s_ashr_i32 s17, s15, 31
	s_load_b128 s[12:15], s[0:1], 0x10
	s_lshl_b64 s[6:7], s[16:17], 3
	s_mov_b32 s22, exec_lo
	s_waitcnt lgkmcnt(0)
	s_ashr_i32 s21, s20, 31
	s_add_u32 s2, s2, s6
	s_addc_u32 s3, s3, s7
	s_add_u32 s4, s4, s6
	s_addc_u32 s5, s5, s7
	s_load_b64 s[2:3], s[2:3], 0x0
	s_load_b64 s[18:19], s[4:5], 0x0
	s_load_b256 s[4:11], s[0:1], 0x30
	s_waitcnt lgkmcnt(0)
	s_add_u32 s2, s18, s2
	s_addc_u32 s3, s19, s3
	s_mul_i32 s18, s2, s21
	s_mul_hi_u32 s19, s2, s20
	s_mul_i32 s3, s3, s20
	s_add_i32 s18, s19, s18
	s_mul_i32 s2, s2, s20
	s_add_i32 s3, s18, s3
	s_delay_alu instid0(SALU_CYCLE_1) | instskip(NEXT) | instid1(SALU_CYCLE_1)
	s_lshl_b64 s[2:3], s[2:3], 1
	s_add_u32 s18, s14, s2
	s_addc_u32 s19, s15, s3
	s_lshr_b32 s2, s20, 31
	s_delay_alu instid0(SALU_CYCLE_1) | instskip(NEXT) | instid1(SALU_CYCLE_1)
	s_add_i32 s20, s20, s2
	s_ashr_i32 s14, s20, 1
	s_delay_alu instid0(SALU_CYCLE_1) | instskip(SKIP_2) | instid1(SALU_CYCLE_1)
	s_ashr_i32 s15, s14, 31
	s_mul_i32 s21, s14, s10
	s_lshl_b64 s[2:3], s[14:15], 1
	s_add_u32 s10, s18, s2
	s_addc_u32 s20, s19, s3
	v_cmpx_gt_i32_e64 s21, v0
	s_cbranch_execz .LBB11_3
; %bb.1:
	s_load_b64 s[2:3], s[0:1], 0x8
	s_mul_i32 s5, s16, s5
	s_mul_hi_u32 s23, s16, s4
	s_mul_i32 s24, s17, s4
	s_add_i32 s5, s23, s5
	s_mul_i32 s4, s16, s4
	s_add_i32 s5, s5, s24
	s_delay_alu instid0(SALU_CYCLE_1)
	s_lshl_b64 s[24:25], s[4:5], 1
	s_load_b32 s4, s[0:1], 0x64
	s_waitcnt lgkmcnt(0)
	s_add_u32 s5, s2, s24
	s_addc_u32 s23, s3, s25
	s_abs_i32 s24, s14
	s_mov_b32 s25, 0
	v_cvt_f32_u32_e32 v1, s24
	s_sub_i32 s2, 0, s24
	s_sub_i32 s29, 0, s14
	s_and_b32 s26, s4, 0xffff
	s_delay_alu instid0(VALU_DEP_1) | instskip(SKIP_3) | instid1(VALU_DEP_1)
	v_rcp_iflag_f32_e32 v1, v1
	s_lshl_b32 s28, s26, 1
	s_waitcnt_depctr 0xfff
	v_mul_f32_e32 v1, 0x4f7ffffe, v1
	v_cvt_u32_f32_e32 v2, v1
	s_delay_alu instid0(VALU_DEP_1) | instskip(SKIP_1) | instid1(SALU_CYCLE_1)
	v_mul_lo_u32 v1, s2, v2
	s_lshl_b32 s2, s14, 1
	s_sub_i32 s27, 0, s2
	s_delay_alu instid0(VALU_DEP_1) | instskip(SKIP_1) | instid1(VALU_DEP_2)
	v_mul_hi_u32 v3, v2, v1
	v_lshlrev_b32_e32 v1, 1, v0
	v_dual_mov_b32 v2, v0 :: v_dual_add_nc_u32 v3, v2, v3
.LBB11_2:                               ; =>This Inner Loop Header: Depth=1
	s_delay_alu instid0(VALU_DEP_1) | instskip(SKIP_1) | instid1(VALU_DEP_2)
	v_sub_nc_u32_e32 v4, 0, v2
	v_ashrrev_i32_e32 v5, 31, v2
	v_max_i32_e32 v4, v2, v4
	s_delay_alu instid0(VALU_DEP_2) | instskip(NEXT) | instid1(VALU_DEP_2)
	v_xor_b32_e32 v5, s15, v5
	v_mul_hi_u32 v6, v4, v3
	s_delay_alu instid0(VALU_DEP_1) | instskip(SKIP_1) | instid1(VALU_DEP_2)
	v_mul_lo_u32 v7, v6, s24
	v_add_nc_u32_e32 v8, 1, v6
	v_sub_nc_u32_e32 v4, v4, v7
	s_delay_alu instid0(VALU_DEP_1) | instskip(SKIP_1) | instid1(VALU_DEP_4)
	v_subrev_nc_u32_e32 v7, s24, v4
	v_cmp_le_u32_e32 vcc_lo, s24, v4
	v_cndmask_b32_e32 v6, v6, v8, vcc_lo
	s_delay_alu instid0(VALU_DEP_1) | instskip(NEXT) | instid1(VALU_DEP_1)
	v_dual_cndmask_b32 v4, v4, v7 :: v_dual_add_nc_u32 v7, 1, v6
	v_cmp_le_u32_e32 vcc_lo, s24, v4
	s_delay_alu instid0(VALU_DEP_2) | instskip(NEXT) | instid1(VALU_DEP_1)
	v_cndmask_b32_e32 v4, v6, v7, vcc_lo
	v_xor_b32_e32 v4, v4, v5
	s_delay_alu instid0(VALU_DEP_1) | instskip(NEXT) | instid1(VALU_DEP_1)
	v_sub_nc_u32_e32 v10, v4, v5
	v_mad_u64_u32 v[4:5], null, s29, v10, v[2:3]
	v_ashrrev_i32_e32 v11, 31, v10
	v_mul_lo_u32 v12, v10, s9
	v_mad_u64_u32 v[6:7], null, v10, s8, 0
	v_mad_u64_u32 v[8:9], null, s27, v10, v[1:2]
	s_delay_alu instid0(VALU_DEP_4) | instskip(SKIP_3) | instid1(VALU_DEP_3)
	v_mul_lo_u32 v10, v11, s8
	v_ashrrev_i32_e32 v5, 31, v4
	v_add_nc_u32_e32 v2, s26, v2
	v_add_nc_u32_e32 v1, s28, v1
	v_lshlrev_b64 v[4:5], 1, v[4:5]
	v_ashrrev_i32_e32 v9, 31, v8
	v_add3_u32 v7, v7, v12, v10
	s_delay_alu instid0(VALU_DEP_3) | instskip(NEXT) | instid1(VALU_DEP_2)
	v_add_co_u32 v10, vcc_lo, s18, v4
	v_lshlrev_b64 v[6:7], 1, v[6:7]
	v_add_co_ci_u32_e32 v11, vcc_lo, s19, v5, vcc_lo
	v_add_co_u32 v4, vcc_lo, s10, v4
	v_lshlrev_b64 v[8:9], 1, v[8:9]
	v_add_co_ci_u32_e32 v5, vcc_lo, s20, v5, vcc_lo
	v_add_co_u32 v6, vcc_lo, s5, v6
	v_add_co_ci_u32_e32 v7, vcc_lo, s23, v7, vcc_lo
	s_clause 0x1
	global_load_u16 v10, v[10:11], off
	global_load_u16 v11, v[4:5], off
	v_add_co_u32 v4, vcc_lo, v6, v8
	v_add_co_ci_u32_e32 v5, vcc_lo, v7, v9, vcc_lo
	global_load_b32 v6, v[4:5], off
	s_waitcnt vmcnt(2)
	v_lshlrev_b32_e32 v7, 16, v10
	s_waitcnt vmcnt(0)
	v_and_b32_e32 v9, 0xffff0000, v6
	v_lshlrev_b32_e32 v6, 16, v6
	v_lshlrev_b32_e32 v8, 16, v11
	s_delay_alu instid0(VALU_DEP_1) | instskip(SKIP_1) | instid1(VALU_DEP_4)
	v_mul_f32_e32 v10, v8, v9
	v_mul_f32_e32 v9, v7, v9
	v_dual_mul_f32 v7, v7, v6 :: v_dual_mul_f32 v6, v6, v8
	s_delay_alu instid0(VALU_DEP_2) | instskip(NEXT) | instid1(VALU_DEP_2)
	v_bfe_u32 v11, v9, 16, 1
	v_bfe_u32 v12, v7, 16, 1
	s_delay_alu instid0(VALU_DEP_3)
	v_bfe_u32 v13, v6, 16, 1
	v_cmp_o_f32_e64 s3, v7, v7
	v_cmp_o_f32_e64 s4, v9, v9
	v_add3_u32 v11, v9, v11, 0x7fff
	v_add3_u32 v12, v7, v12, 0x7fff
	;; [unrolled: 1-line block ×3, first 2 shown]
	s_delay_alu instid0(VALU_DEP_3) | instskip(SKIP_1) | instid1(VALU_DEP_3)
	v_and_b32_e32 v11, 0xffff0000, v11
	v_bfe_u32 v8, v10, 16, 1
	v_and_b32_e32 v13, 0xffff0000, v13
	v_cmp_o_f32_e32 vcc_lo, v10, v10
	v_cmp_o_f32_e64 s2, v6, v6
	v_cndmask_b32_e64 v6, 0x7fc00000, v11, s4
	v_add3_u32 v8, v10, v8, 0x7fff
	s_delay_alu instid0(VALU_DEP_3) | instskip(NEXT) | instid1(VALU_DEP_2)
	v_cndmask_b32_e64 v9, 0x7fc00000, v13, s2
	v_and_b32_e32 v8, 0xffff0000, v8
	s_delay_alu instid0(VALU_DEP_1) | instskip(SKIP_1) | instid1(VALU_DEP_2)
	v_dual_add_f32 v6, v9, v6 :: v_dual_cndmask_b32 v7, 0x7fc00000, v8
	v_and_b32_e32 v12, 0xffff0000, v12
	v_bfe_u32 v9, v6, 16, 1
	v_cmp_o_f32_e32 vcc_lo, v6, v6
	s_delay_alu instid0(VALU_DEP_3) | instskip(NEXT) | instid1(VALU_DEP_3)
	v_cndmask_b32_e64 v8, 0x7fc00000, v12, s3
	v_add3_u32 v9, v6, v9, 0x7fff
	s_delay_alu instid0(VALU_DEP_2) | instskip(NEXT) | instid1(VALU_DEP_2)
	v_sub_f32_e32 v7, v8, v7
	v_lshrrev_b32_e32 v9, 16, v9
	s_delay_alu instid0(VALU_DEP_2) | instskip(SKIP_1) | instid1(VALU_DEP_2)
	v_bfe_u32 v8, v7, 16, 1
	v_cmp_o_f32_e64 s2, v7, v7
	v_add3_u32 v8, v7, v8, 0x7fff
	s_delay_alu instid0(VALU_DEP_4) | instskip(SKIP_1) | instid1(VALU_DEP_3)
	v_cndmask_b32_e32 v7, 0x7fc0, v9, vcc_lo
	v_cmp_le_i32_e32 vcc_lo, s21, v2
	v_lshrrev_b32_e32 v8, 16, v8
	s_or_b32 s25, vcc_lo, s25
	s_delay_alu instid0(VALU_DEP_1) | instskip(NEXT) | instid1(VALU_DEP_1)
	v_cndmask_b32_e64 v6, 0x7fc0, v8, s2
	v_perm_b32 v6, v7, v6, 0x5040100
	global_store_b32 v[4:5], v6, off
	s_and_not1_b32 exec_lo, exec_lo, s25
	s_cbranch_execnz .LBB11_2
.LBB11_3:
	s_or_b32 exec_lo, exec_lo, s22
	s_cmp_lg_u64 s[12:13], 0
	s_cbranch_scc0 .LBB11_7
; %bb.4:
	s_mul_i32 s3, s14, s11
	s_mov_b32 s2, exec_lo
	v_cmpx_gt_i32_e64 s3, v0
	s_cbranch_execz .LBB11_7
; %bb.5:
	s_mul_i32 s2, s16, s7
	s_mul_hi_u32 s4, s16, s6
	s_mul_i32 s5, s17, s6
	s_add_i32 s2, s4, s2
	s_mul_i32 s4, s16, s6
	s_add_i32 s5, s2, s5
	s_load_b32 s0, s[0:1], 0x64
	s_lshl_b64 s[4:5], s[4:5], 1
	s_mov_b32 s7, 0
	s_add_u32 s4, s12, s4
	s_addc_u32 s5, s13, s5
	s_abs_i32 s6, s14
	s_delay_alu instid0(SALU_CYCLE_1) | instskip(SKIP_1) | instid1(VALU_DEP_1)
	v_cvt_f32_u32_e32 v1, s6
	s_sub_i32 s1, 0, s6
	v_rcp_iflag_f32_e32 v1, v1
	s_waitcnt lgkmcnt(0)
	s_and_b32 s11, s0, 0xffff
	s_waitcnt_depctr 0xfff
	v_mul_f32_e32 v1, 0x4f7ffffe, v1
	s_lshl_b32 s13, s11, 1
	s_delay_alu instid0(VALU_DEP_1) | instskip(NEXT) | instid1(VALU_DEP_1)
	v_cvt_u32_f32_e32 v1, v1
	v_mul_lo_u32 v2, s1, v1
	s_lshl_b32 s1, s14, 1
	s_sub_i32 s14, 0, s14
	s_sub_i32 s12, 0, s1
	s_delay_alu instid0(VALU_DEP_1) | instskip(NEXT) | instid1(VALU_DEP_1)
	v_mul_hi_u32 v2, v1, v2
	v_add_nc_u32_e32 v2, v1, v2
	v_lshlrev_b32_e32 v1, 1, v0
.LBB11_6:                               ; =>This Inner Loop Header: Depth=1
	v_sub_nc_u32_e32 v3, 0, v0
	v_ashrrev_i32_e32 v4, 31, v0
	s_delay_alu instid0(VALU_DEP_2) | instskip(NEXT) | instid1(VALU_DEP_2)
	v_max_i32_e32 v3, v0, v3
	v_xor_b32_e32 v4, s15, v4
	s_delay_alu instid0(VALU_DEP_2) | instskip(NEXT) | instid1(VALU_DEP_1)
	v_mul_hi_u32 v5, v3, v2
	v_mul_lo_u32 v6, v5, s6
	v_add_nc_u32_e32 v7, 1, v5
	s_delay_alu instid0(VALU_DEP_2) | instskip(NEXT) | instid1(VALU_DEP_1)
	v_sub_nc_u32_e32 v3, v3, v6
	v_subrev_nc_u32_e32 v6, s6, v3
	v_cmp_le_u32_e32 vcc_lo, s6, v3
	s_delay_alu instid0(VALU_DEP_4) | instskip(NEXT) | instid1(VALU_DEP_1)
	v_cndmask_b32_e32 v5, v5, v7, vcc_lo
	v_dual_cndmask_b32 v3, v3, v6 :: v_dual_add_nc_u32 v6, 1, v5
	s_delay_alu instid0(VALU_DEP_1) | instskip(NEXT) | instid1(VALU_DEP_2)
	v_cmp_le_u32_e32 vcc_lo, s6, v3
	v_cndmask_b32_e32 v3, v5, v6, vcc_lo
	s_delay_alu instid0(VALU_DEP_1) | instskip(NEXT) | instid1(VALU_DEP_1)
	v_xor_b32_e32 v3, v3, v4
	v_sub_nc_u32_e32 v9, v3, v4
	s_delay_alu instid0(VALU_DEP_1) | instskip(SKIP_4) | instid1(VALU_DEP_4)
	v_mad_u64_u32 v[3:4], null, s14, v9, v[0:1]
	v_ashrrev_i32_e32 v10, 31, v9
	v_mul_lo_u32 v11, v9, s9
	v_mad_u64_u32 v[5:6], null, v9, s8, 0
	v_mad_u64_u32 v[7:8], null, s12, v9, v[1:2]
	v_mul_lo_u32 v9, v10, s8
	v_ashrrev_i32_e32 v4, 31, v3
	v_add_nc_u32_e32 v1, s13, v1
	v_add_nc_u32_e32 v0, s11, v0
	s_delay_alu instid0(VALU_DEP_3) | instskip(SKIP_2) | instid1(VALU_DEP_3)
	v_lshlrev_b64 v[3:4], 1, v[3:4]
	v_ashrrev_i32_e32 v8, 31, v7
	v_add3_u32 v6, v6, v11, v9
	v_add_co_u32 v9, vcc_lo, s18, v3
	s_delay_alu instid0(VALU_DEP_2)
	v_lshlrev_b64 v[5:6], 1, v[5:6]
	v_add_co_ci_u32_e32 v10, vcc_lo, s19, v4, vcc_lo
	v_add_co_u32 v3, vcc_lo, s10, v3
	v_lshlrev_b64 v[7:8], 1, v[7:8]
	v_add_co_ci_u32_e32 v4, vcc_lo, s20, v4, vcc_lo
	v_add_co_u32 v5, vcc_lo, s4, v5
	v_add_co_ci_u32_e32 v6, vcc_lo, s5, v6, vcc_lo
	s_clause 0x1
	global_load_u16 v9, v[9:10], off
	global_load_u16 v10, v[3:4], off
	v_add_co_u32 v3, vcc_lo, v5, v7
	v_add_co_ci_u32_e32 v4, vcc_lo, v6, v8, vcc_lo
	global_load_b32 v5, v[3:4], off
	s_waitcnt vmcnt(2)
	v_lshlrev_b32_e32 v6, 16, v9
	s_waitcnt vmcnt(0)
	v_and_b32_e32 v8, 0xffff0000, v5
	v_lshlrev_b32_e32 v5, 16, v5
	v_lshlrev_b32_e32 v7, 16, v10
	s_delay_alu instid0(VALU_DEP_1) | instskip(SKIP_1) | instid1(VALU_DEP_4)
	v_mul_f32_e32 v9, v7, v8
	v_mul_f32_e32 v8, v6, v8
	v_dual_mul_f32 v6, v6, v5 :: v_dual_mul_f32 v5, v5, v7
	s_delay_alu instid0(VALU_DEP_2) | instskip(NEXT) | instid1(VALU_DEP_2)
	v_bfe_u32 v10, v8, 16, 1
	v_bfe_u32 v11, v6, 16, 1
	s_delay_alu instid0(VALU_DEP_3)
	v_bfe_u32 v12, v5, 16, 1
	v_cmp_o_f32_e64 s1, v6, v6
	v_cmp_o_f32_e64 s2, v8, v8
	v_add3_u32 v10, v8, v10, 0x7fff
	v_add3_u32 v11, v6, v11, 0x7fff
	;; [unrolled: 1-line block ×3, first 2 shown]
	s_delay_alu instid0(VALU_DEP_3) | instskip(SKIP_1) | instid1(VALU_DEP_3)
	v_and_b32_e32 v10, 0xffff0000, v10
	v_bfe_u32 v7, v9, 16, 1
	v_and_b32_e32 v12, 0xffff0000, v12
	v_cmp_o_f32_e32 vcc_lo, v9, v9
	v_cmp_o_f32_e64 s0, v5, v5
	v_cndmask_b32_e64 v5, 0x7fc00000, v10, s2
	v_add3_u32 v7, v9, v7, 0x7fff
	s_delay_alu instid0(VALU_DEP_3) | instskip(NEXT) | instid1(VALU_DEP_2)
	v_cndmask_b32_e64 v8, 0x7fc00000, v12, s0
	v_and_b32_e32 v7, 0xffff0000, v7
	s_delay_alu instid0(VALU_DEP_1) | instskip(SKIP_1) | instid1(VALU_DEP_2)
	v_dual_add_f32 v5, v8, v5 :: v_dual_cndmask_b32 v6, 0x7fc00000, v7
	v_and_b32_e32 v11, 0xffff0000, v11
	v_bfe_u32 v8, v5, 16, 1
	v_cmp_o_f32_e32 vcc_lo, v5, v5
	s_delay_alu instid0(VALU_DEP_3) | instskip(NEXT) | instid1(VALU_DEP_3)
	v_cndmask_b32_e64 v7, 0x7fc00000, v11, s1
	v_add3_u32 v8, v5, v8, 0x7fff
	s_delay_alu instid0(VALU_DEP_2) | instskip(NEXT) | instid1(VALU_DEP_2)
	v_sub_f32_e32 v6, v7, v6
	v_lshrrev_b32_e32 v8, 16, v8
	s_delay_alu instid0(VALU_DEP_2) | instskip(SKIP_1) | instid1(VALU_DEP_2)
	v_bfe_u32 v7, v6, 16, 1
	v_cmp_o_f32_e64 s0, v6, v6
	v_add3_u32 v7, v6, v7, 0x7fff
	s_delay_alu instid0(VALU_DEP_4) | instskip(SKIP_1) | instid1(VALU_DEP_3)
	v_cndmask_b32_e32 v6, 0x7fc0, v8, vcc_lo
	v_cmp_le_i32_e32 vcc_lo, s3, v0
	v_lshrrev_b32_e32 v7, 16, v7
	s_or_b32 s7, vcc_lo, s7
	s_delay_alu instid0(VALU_DEP_1) | instskip(NEXT) | instid1(VALU_DEP_1)
	v_cndmask_b32_e64 v5, 0x7fc0, v7, s0
	v_perm_b32 v5, v6, v5, 0x5040100
	global_store_b32 v[3:4], v5, off
	s_and_not1_b32 exec_lo, exec_lo, s7
	s_cbranch_execnz .LBB11_6
.LBB11_7:
	s_nop 0
	s_sendmsg sendmsg(MSG_DEALLOC_VGPRS)
	s_endpgm
	.section	.rodata,"a",@progbits
	.p2align	6, 0x0
	.amdhsa_kernel _ZN4vllm31batched_rotary_embedding_kernelIN3c108BFloat16ELb0EEEvPKlPT_S6_PKS5_S4_illliii
		.amdhsa_group_segment_fixed_size 0
		.amdhsa_private_segment_fixed_size 0
		.amdhsa_kernarg_size 344
		.amdhsa_user_sgpr_count 15
		.amdhsa_user_sgpr_dispatch_ptr 0
		.amdhsa_user_sgpr_queue_ptr 0
		.amdhsa_user_sgpr_kernarg_segment_ptr 1
		.amdhsa_user_sgpr_dispatch_id 0
		.amdhsa_user_sgpr_private_segment_size 0
		.amdhsa_wavefront_size32 1
		.amdhsa_uses_dynamic_stack 0
		.amdhsa_enable_private_segment 0
		.amdhsa_system_sgpr_workgroup_id_x 1
		.amdhsa_system_sgpr_workgroup_id_y 0
		.amdhsa_system_sgpr_workgroup_id_z 0
		.amdhsa_system_sgpr_workgroup_info 0
		.amdhsa_system_vgpr_workitem_id 0
		.amdhsa_next_free_vgpr 14
		.amdhsa_next_free_sgpr 30
		.amdhsa_reserve_vcc 1
		.amdhsa_float_round_mode_32 0
		.amdhsa_float_round_mode_16_64 0
		.amdhsa_float_denorm_mode_32 3
		.amdhsa_float_denorm_mode_16_64 3
		.amdhsa_dx10_clamp 1
		.amdhsa_ieee_mode 1
		.amdhsa_fp16_overflow 0
		.amdhsa_workgroup_processor_mode 1
		.amdhsa_memory_ordered 1
		.amdhsa_forward_progress 0
		.amdhsa_shared_vgpr_count 0
		.amdhsa_exception_fp_ieee_invalid_op 0
		.amdhsa_exception_fp_denorm_src 0
		.amdhsa_exception_fp_ieee_div_zero 0
		.amdhsa_exception_fp_ieee_overflow 0
		.amdhsa_exception_fp_ieee_underflow 0
		.amdhsa_exception_fp_ieee_inexact 0
		.amdhsa_exception_int_div_zero 0
	.end_amdhsa_kernel
	.section	.text._ZN4vllm31batched_rotary_embedding_kernelIN3c108BFloat16ELb0EEEvPKlPT_S6_PKS5_S4_illliii,"axG",@progbits,_ZN4vllm31batched_rotary_embedding_kernelIN3c108BFloat16ELb0EEEvPKlPT_S6_PKS5_S4_illliii,comdat
.Lfunc_end11:
	.size	_ZN4vllm31batched_rotary_embedding_kernelIN3c108BFloat16ELb0EEEvPKlPT_S6_PKS5_S4_illliii, .Lfunc_end11-_ZN4vllm31batched_rotary_embedding_kernelIN3c108BFloat16ELb0EEEvPKlPT_S6_PKS5_S4_illliii
                                        ; -- End function
	.section	.AMDGPU.csdata,"",@progbits
; Kernel info:
; codeLenInByte = 1904
; NumSgprs: 32
; NumVgprs: 14
; ScratchSize: 0
; MemoryBound: 0
; FloatMode: 240
; IeeeMode: 1
; LDSByteSize: 0 bytes/workgroup (compile time only)
; SGPRBlocks: 3
; VGPRBlocks: 1
; NumSGPRsForWavesPerEU: 32
; NumVGPRsForWavesPerEU: 14
; Occupancy: 16
; WaveLimiterHint : 1
; COMPUTE_PGM_RSRC2:SCRATCH_EN: 0
; COMPUTE_PGM_RSRC2:USER_SGPR: 15
; COMPUTE_PGM_RSRC2:TRAP_HANDLER: 0
; COMPUTE_PGM_RSRC2:TGID_X_EN: 1
; COMPUTE_PGM_RSRC2:TGID_Y_EN: 0
; COMPUTE_PGM_RSRC2:TGID_Z_EN: 0
; COMPUTE_PGM_RSRC2:TIDIG_COMP_CNT: 0
	.text
	.p2alignl 7, 3214868480
	.fill 96, 4, 3214868480
	.type	__hip_cuid_d08cabe2fa387832,@object ; @__hip_cuid_d08cabe2fa387832
	.section	.bss,"aw",@nobits
	.globl	__hip_cuid_d08cabe2fa387832
__hip_cuid_d08cabe2fa387832:
	.byte	0                               ; 0x0
	.size	__hip_cuid_d08cabe2fa387832, 1

	.ident	"AMD clang version 19.0.0git (https://github.com/RadeonOpenCompute/llvm-project roc-6.4.0 25133 c7fe45cf4b819c5991fe208aaa96edf142730f1d)"
	.section	".note.GNU-stack","",@progbits
	.addrsig
	.addrsig_sym __hip_cuid_d08cabe2fa387832
	.amdgpu_metadata
---
amdhsa.kernels:
  - .args:
      - .actual_access:  read_only
        .address_space:  global
        .offset:         0
        .size:           8
        .value_kind:     global_buffer
      - .address_space:  global
        .offset:         8
        .size:           8
        .value_kind:     global_buffer
      - .address_space:  global
        .offset:         16
        .size:           8
        .value_kind:     global_buffer
      - .actual_access:  read_only
        .address_space:  global
        .offset:         24
        .size:           8
        .value_kind:     global_buffer
      - .offset:         32
        .size:           4
        .value_kind:     by_value
      - .offset:         40
        .size:           8
        .value_kind:     by_value
      - .offset:         48
        .size:           8
        .value_kind:     by_value
      - .offset:         56
        .size:           8
        .value_kind:     by_value
      - .offset:         64
        .size:           4
        .value_kind:     by_value
      - .offset:         68
        .size:           4
        .value_kind:     by_value
      - .offset:         72
        .size:           4
        .value_kind:     by_value
      - .offset:         80
        .size:           4
        .value_kind:     hidden_block_count_x
      - .offset:         84
        .size:           4
        .value_kind:     hidden_block_count_y
      - .offset:         88
        .size:           4
        .value_kind:     hidden_block_count_z
      - .offset:         92
        .size:           2
        .value_kind:     hidden_group_size_x
      - .offset:         94
        .size:           2
        .value_kind:     hidden_group_size_y
      - .offset:         96
        .size:           2
        .value_kind:     hidden_group_size_z
      - .offset:         98
        .size:           2
        .value_kind:     hidden_remainder_x
      - .offset:         100
        .size:           2
        .value_kind:     hidden_remainder_y
      - .offset:         102
        .size:           2
        .value_kind:     hidden_remainder_z
      - .offset:         120
        .size:           8
        .value_kind:     hidden_global_offset_x
      - .offset:         128
        .size:           8
        .value_kind:     hidden_global_offset_y
      - .offset:         136
        .size:           8
        .value_kind:     hidden_global_offset_z
      - .offset:         144
        .size:           2
        .value_kind:     hidden_grid_dims
    .group_segment_fixed_size: 0
    .kernarg_segment_align: 8
    .kernarg_segment_size: 336
    .language:       OpenCL C
    .language_version:
      - 2
      - 0
    .max_flat_workgroup_size: 1024
    .name:           _ZN4vllm23rotary_embedding_kernelIfLb1EEEvPKlPT_S4_PKS3_illliii
    .private_segment_fixed_size: 0
    .sgpr_count:     29
    .sgpr_spill_count: 0
    .symbol:         _ZN4vllm23rotary_embedding_kernelIfLb1EEEvPKlPT_S4_PKS3_illliii.kd
    .uniform_work_group_size: 1
    .uses_dynamic_stack: false
    .vgpr_count:     12
    .vgpr_spill_count: 0
    .wavefront_size: 32
    .workgroup_processor_mode: 1
  - .args:
      - .actual_access:  read_only
        .address_space:  global
        .offset:         0
        .size:           8
        .value_kind:     global_buffer
      - .address_space:  global
        .offset:         8
        .size:           8
        .value_kind:     global_buffer
      - .address_space:  global
        .offset:         16
        .size:           8
        .value_kind:     global_buffer
      - .actual_access:  read_only
        .address_space:  global
        .offset:         24
        .size:           8
        .value_kind:     global_buffer
      - .offset:         32
        .size:           4
        .value_kind:     by_value
      - .offset:         40
        .size:           8
        .value_kind:     by_value
      - .offset:         48
        .size:           8
        .value_kind:     by_value
      - .offset:         56
        .size:           8
        .value_kind:     by_value
      - .offset:         64
        .size:           4
        .value_kind:     by_value
      - .offset:         68
        .size:           4
        .value_kind:     by_value
      - .offset:         72
        .size:           4
        .value_kind:     by_value
      - .offset:         80
        .size:           4
        .value_kind:     hidden_block_count_x
      - .offset:         84
        .size:           4
        .value_kind:     hidden_block_count_y
      - .offset:         88
        .size:           4
        .value_kind:     hidden_block_count_z
      - .offset:         92
        .size:           2
        .value_kind:     hidden_group_size_x
      - .offset:         94
        .size:           2
        .value_kind:     hidden_group_size_y
      - .offset:         96
        .size:           2
        .value_kind:     hidden_group_size_z
      - .offset:         98
        .size:           2
        .value_kind:     hidden_remainder_x
      - .offset:         100
        .size:           2
        .value_kind:     hidden_remainder_y
      - .offset:         102
        .size:           2
        .value_kind:     hidden_remainder_z
      - .offset:         120
        .size:           8
        .value_kind:     hidden_global_offset_x
      - .offset:         128
        .size:           8
        .value_kind:     hidden_global_offset_y
      - .offset:         136
        .size:           8
        .value_kind:     hidden_global_offset_z
      - .offset:         144
        .size:           2
        .value_kind:     hidden_grid_dims
    .group_segment_fixed_size: 0
    .kernarg_segment_align: 8
    .kernarg_segment_size: 336
    .language:       OpenCL C
    .language_version:
      - 2
      - 0
    .max_flat_workgroup_size: 1024
    .name:           _ZN4vllm23rotary_embedding_kernelIfLb0EEEvPKlPT_S4_PKS3_illliii
    .private_segment_fixed_size: 0
    .sgpr_count:     29
    .sgpr_spill_count: 0
    .symbol:         _ZN4vllm23rotary_embedding_kernelIfLb0EEEvPKlPT_S4_PKS3_illliii.kd
    .uniform_work_group_size: 1
    .uses_dynamic_stack: false
    .vgpr_count:     13
    .vgpr_spill_count: 0
    .wavefront_size: 32
    .workgroup_processor_mode: 1
  - .args:
      - .actual_access:  read_only
        .address_space:  global
        .offset:         0
        .size:           8
        .value_kind:     global_buffer
      - .address_space:  global
        .offset:         8
        .size:           8
        .value_kind:     global_buffer
      - .address_space:  global
        .offset:         16
        .size:           8
        .value_kind:     global_buffer
      - .actual_access:  read_only
        .address_space:  global
        .offset:         24
        .size:           8
        .value_kind:     global_buffer
      - .offset:         32
        .size:           4
        .value_kind:     by_value
      - .offset:         40
        .size:           8
        .value_kind:     by_value
      - .offset:         48
        .size:           8
        .value_kind:     by_value
      - .offset:         56
        .size:           8
        .value_kind:     by_value
      - .offset:         64
        .size:           4
        .value_kind:     by_value
      - .offset:         68
        .size:           4
        .value_kind:     by_value
      - .offset:         72
        .size:           4
        .value_kind:     by_value
      - .offset:         80
        .size:           4
        .value_kind:     hidden_block_count_x
      - .offset:         84
        .size:           4
        .value_kind:     hidden_block_count_y
      - .offset:         88
        .size:           4
        .value_kind:     hidden_block_count_z
      - .offset:         92
        .size:           2
        .value_kind:     hidden_group_size_x
      - .offset:         94
        .size:           2
        .value_kind:     hidden_group_size_y
      - .offset:         96
        .size:           2
        .value_kind:     hidden_group_size_z
      - .offset:         98
        .size:           2
        .value_kind:     hidden_remainder_x
      - .offset:         100
        .size:           2
        .value_kind:     hidden_remainder_y
      - .offset:         102
        .size:           2
        .value_kind:     hidden_remainder_z
      - .offset:         120
        .size:           8
        .value_kind:     hidden_global_offset_x
      - .offset:         128
        .size:           8
        .value_kind:     hidden_global_offset_y
      - .offset:         136
        .size:           8
        .value_kind:     hidden_global_offset_z
      - .offset:         144
        .size:           2
        .value_kind:     hidden_grid_dims
    .group_segment_fixed_size: 0
    .kernarg_segment_align: 8
    .kernarg_segment_size: 336
    .language:       OpenCL C
    .language_version:
      - 2
      - 0
    .max_flat_workgroup_size: 1024
    .name:           _ZN4vllm23rotary_embedding_kernelIN3c104HalfELb1EEEvPKlPT_S6_PKS5_illliii
    .private_segment_fixed_size: 0
    .sgpr_count:     29
    .sgpr_spill_count: 0
    .symbol:         _ZN4vllm23rotary_embedding_kernelIN3c104HalfELb1EEEvPKlPT_S6_PKS5_illliii.kd
    .uniform_work_group_size: 1
    .uses_dynamic_stack: false
    .vgpr_count:     12
    .vgpr_spill_count: 0
    .wavefront_size: 32
    .workgroup_processor_mode: 1
  - .args:
      - .actual_access:  read_only
        .address_space:  global
        .offset:         0
        .size:           8
        .value_kind:     global_buffer
      - .address_space:  global
        .offset:         8
        .size:           8
        .value_kind:     global_buffer
      - .address_space:  global
        .offset:         16
        .size:           8
        .value_kind:     global_buffer
      - .actual_access:  read_only
        .address_space:  global
        .offset:         24
        .size:           8
        .value_kind:     global_buffer
      - .offset:         32
        .size:           4
        .value_kind:     by_value
      - .offset:         40
        .size:           8
        .value_kind:     by_value
      - .offset:         48
        .size:           8
        .value_kind:     by_value
      - .offset:         56
        .size:           8
        .value_kind:     by_value
      - .offset:         64
        .size:           4
        .value_kind:     by_value
      - .offset:         68
        .size:           4
        .value_kind:     by_value
      - .offset:         72
        .size:           4
        .value_kind:     by_value
      - .offset:         80
        .size:           4
        .value_kind:     hidden_block_count_x
      - .offset:         84
        .size:           4
        .value_kind:     hidden_block_count_y
      - .offset:         88
        .size:           4
        .value_kind:     hidden_block_count_z
      - .offset:         92
        .size:           2
        .value_kind:     hidden_group_size_x
      - .offset:         94
        .size:           2
        .value_kind:     hidden_group_size_y
      - .offset:         96
        .size:           2
        .value_kind:     hidden_group_size_z
      - .offset:         98
        .size:           2
        .value_kind:     hidden_remainder_x
      - .offset:         100
        .size:           2
        .value_kind:     hidden_remainder_y
      - .offset:         102
        .size:           2
        .value_kind:     hidden_remainder_z
      - .offset:         120
        .size:           8
        .value_kind:     hidden_global_offset_x
      - .offset:         128
        .size:           8
        .value_kind:     hidden_global_offset_y
      - .offset:         136
        .size:           8
        .value_kind:     hidden_global_offset_z
      - .offset:         144
        .size:           2
        .value_kind:     hidden_grid_dims
    .group_segment_fixed_size: 0
    .kernarg_segment_align: 8
    .kernarg_segment_size: 336
    .language:       OpenCL C
    .language_version:
      - 2
      - 0
    .max_flat_workgroup_size: 1024
    .name:           _ZN4vllm23rotary_embedding_kernelIN3c104HalfELb0EEEvPKlPT_S6_PKS5_illliii
    .private_segment_fixed_size: 0
    .sgpr_count:     29
    .sgpr_spill_count: 0
    .symbol:         _ZN4vllm23rotary_embedding_kernelIN3c104HalfELb0EEEvPKlPT_S6_PKS5_illliii.kd
    .uniform_work_group_size: 1
    .uses_dynamic_stack: false
    .vgpr_count:     13
    .vgpr_spill_count: 0
    .wavefront_size: 32
    .workgroup_processor_mode: 1
  - .args:
      - .actual_access:  read_only
        .address_space:  global
        .offset:         0
        .size:           8
        .value_kind:     global_buffer
      - .address_space:  global
        .offset:         8
        .size:           8
        .value_kind:     global_buffer
      - .address_space:  global
        .offset:         16
        .size:           8
        .value_kind:     global_buffer
      - .actual_access:  read_only
        .address_space:  global
        .offset:         24
        .size:           8
        .value_kind:     global_buffer
      - .offset:         32
        .size:           4
        .value_kind:     by_value
      - .offset:         40
        .size:           8
        .value_kind:     by_value
      - .offset:         48
        .size:           8
        .value_kind:     by_value
      - .offset:         56
        .size:           8
        .value_kind:     by_value
      - .offset:         64
        .size:           4
        .value_kind:     by_value
      - .offset:         68
        .size:           4
        .value_kind:     by_value
      - .offset:         72
        .size:           4
        .value_kind:     by_value
      - .offset:         80
        .size:           4
        .value_kind:     hidden_block_count_x
      - .offset:         84
        .size:           4
        .value_kind:     hidden_block_count_y
      - .offset:         88
        .size:           4
        .value_kind:     hidden_block_count_z
      - .offset:         92
        .size:           2
        .value_kind:     hidden_group_size_x
      - .offset:         94
        .size:           2
        .value_kind:     hidden_group_size_y
      - .offset:         96
        .size:           2
        .value_kind:     hidden_group_size_z
      - .offset:         98
        .size:           2
        .value_kind:     hidden_remainder_x
      - .offset:         100
        .size:           2
        .value_kind:     hidden_remainder_y
      - .offset:         102
        .size:           2
        .value_kind:     hidden_remainder_z
      - .offset:         120
        .size:           8
        .value_kind:     hidden_global_offset_x
      - .offset:         128
        .size:           8
        .value_kind:     hidden_global_offset_y
      - .offset:         136
        .size:           8
        .value_kind:     hidden_global_offset_z
      - .offset:         144
        .size:           2
        .value_kind:     hidden_grid_dims
    .group_segment_fixed_size: 0
    .kernarg_segment_align: 8
    .kernarg_segment_size: 336
    .language:       OpenCL C
    .language_version:
      - 2
      - 0
    .max_flat_workgroup_size: 1024
    .name:           _ZN4vllm23rotary_embedding_kernelIN3c108BFloat16ELb1EEEvPKlPT_S6_PKS5_illliii
    .private_segment_fixed_size: 0
    .sgpr_count:     31
    .sgpr_spill_count: 0
    .symbol:         _ZN4vllm23rotary_embedding_kernelIN3c108BFloat16ELb1EEEvPKlPT_S6_PKS5_illliii.kd
    .uniform_work_group_size: 1
    .uses_dynamic_stack: false
    .vgpr_count:     15
    .vgpr_spill_count: 0
    .wavefront_size: 32
    .workgroup_processor_mode: 1
  - .args:
      - .actual_access:  read_only
        .address_space:  global
        .offset:         0
        .size:           8
        .value_kind:     global_buffer
      - .address_space:  global
        .offset:         8
        .size:           8
        .value_kind:     global_buffer
      - .address_space:  global
        .offset:         16
        .size:           8
        .value_kind:     global_buffer
      - .actual_access:  read_only
        .address_space:  global
        .offset:         24
        .size:           8
        .value_kind:     global_buffer
      - .offset:         32
        .size:           4
        .value_kind:     by_value
      - .offset:         40
        .size:           8
        .value_kind:     by_value
      - .offset:         48
        .size:           8
        .value_kind:     by_value
      - .offset:         56
        .size:           8
        .value_kind:     by_value
      - .offset:         64
        .size:           4
        .value_kind:     by_value
      - .offset:         68
        .size:           4
        .value_kind:     by_value
      - .offset:         72
        .size:           4
        .value_kind:     by_value
      - .offset:         80
        .size:           4
        .value_kind:     hidden_block_count_x
      - .offset:         84
        .size:           4
        .value_kind:     hidden_block_count_y
      - .offset:         88
        .size:           4
        .value_kind:     hidden_block_count_z
      - .offset:         92
        .size:           2
        .value_kind:     hidden_group_size_x
      - .offset:         94
        .size:           2
        .value_kind:     hidden_group_size_y
      - .offset:         96
        .size:           2
        .value_kind:     hidden_group_size_z
      - .offset:         98
        .size:           2
        .value_kind:     hidden_remainder_x
      - .offset:         100
        .size:           2
        .value_kind:     hidden_remainder_y
      - .offset:         102
        .size:           2
        .value_kind:     hidden_remainder_z
      - .offset:         120
        .size:           8
        .value_kind:     hidden_global_offset_x
      - .offset:         128
        .size:           8
        .value_kind:     hidden_global_offset_y
      - .offset:         136
        .size:           8
        .value_kind:     hidden_global_offset_z
      - .offset:         144
        .size:           2
        .value_kind:     hidden_grid_dims
    .group_segment_fixed_size: 0
    .kernarg_segment_align: 8
    .kernarg_segment_size: 336
    .language:       OpenCL C
    .language_version:
      - 2
      - 0
    .max_flat_workgroup_size: 1024
    .name:           _ZN4vllm23rotary_embedding_kernelIN3c108BFloat16ELb0EEEvPKlPT_S6_PKS5_illliii
    .private_segment_fixed_size: 0
    .sgpr_count:     32
    .sgpr_spill_count: 0
    .symbol:         _ZN4vllm23rotary_embedding_kernelIN3c108BFloat16ELb0EEEvPKlPT_S6_PKS5_illliii.kd
    .uniform_work_group_size: 1
    .uses_dynamic_stack: false
    .vgpr_count:     14
    .vgpr_spill_count: 0
    .wavefront_size: 32
    .workgroup_processor_mode: 1
  - .args:
      - .actual_access:  read_only
        .address_space:  global
        .offset:         0
        .size:           8
        .value_kind:     global_buffer
      - .address_space:  global
        .offset:         8
        .size:           8
        .value_kind:     global_buffer
      - .address_space:  global
        .offset:         16
        .size:           8
        .value_kind:     global_buffer
      - .actual_access:  read_only
        .address_space:  global
        .offset:         24
        .size:           8
        .value_kind:     global_buffer
      - .actual_access:  read_only
        .address_space:  global
        .offset:         32
        .size:           8
        .value_kind:     global_buffer
      - .offset:         40
        .size:           4
        .value_kind:     by_value
      - .offset:         48
        .size:           8
        .value_kind:     by_value
      - .offset:         56
        .size:           8
        .value_kind:     by_value
      - .offset:         64
        .size:           8
        .value_kind:     by_value
      - .offset:         72
        .size:           4
        .value_kind:     by_value
      - .offset:         76
        .size:           4
        .value_kind:     by_value
      - .offset:         80
        .size:           4
        .value_kind:     by_value
      - .offset:         88
        .size:           4
        .value_kind:     hidden_block_count_x
      - .offset:         92
        .size:           4
        .value_kind:     hidden_block_count_y
      - .offset:         96
        .size:           4
        .value_kind:     hidden_block_count_z
      - .offset:         100
        .size:           2
        .value_kind:     hidden_group_size_x
      - .offset:         102
        .size:           2
        .value_kind:     hidden_group_size_y
      - .offset:         104
        .size:           2
        .value_kind:     hidden_group_size_z
      - .offset:         106
        .size:           2
        .value_kind:     hidden_remainder_x
      - .offset:         108
        .size:           2
        .value_kind:     hidden_remainder_y
      - .offset:         110
        .size:           2
        .value_kind:     hidden_remainder_z
      - .offset:         128
        .size:           8
        .value_kind:     hidden_global_offset_x
      - .offset:         136
        .size:           8
        .value_kind:     hidden_global_offset_y
      - .offset:         144
        .size:           8
        .value_kind:     hidden_global_offset_z
      - .offset:         152
        .size:           2
        .value_kind:     hidden_grid_dims
    .group_segment_fixed_size: 0
    .kernarg_segment_align: 8
    .kernarg_segment_size: 344
    .language:       OpenCL C
    .language_version:
      - 2
      - 0
    .max_flat_workgroup_size: 1024
    .name:           _ZN4vllm31batched_rotary_embedding_kernelIfLb1EEEvPKlPT_S4_PKS3_S2_illliii
    .private_segment_fixed_size: 0
    .sgpr_count:     29
    .sgpr_spill_count: 0
    .symbol:         _ZN4vllm31batched_rotary_embedding_kernelIfLb1EEEvPKlPT_S4_PKS3_S2_illliii.kd
    .uniform_work_group_size: 1
    .uses_dynamic_stack: false
    .vgpr_count:     12
    .vgpr_spill_count: 0
    .wavefront_size: 32
    .workgroup_processor_mode: 1
  - .args:
      - .actual_access:  read_only
        .address_space:  global
        .offset:         0
        .size:           8
        .value_kind:     global_buffer
      - .address_space:  global
        .offset:         8
        .size:           8
        .value_kind:     global_buffer
      - .address_space:  global
        .offset:         16
        .size:           8
        .value_kind:     global_buffer
      - .actual_access:  read_only
        .address_space:  global
        .offset:         24
        .size:           8
        .value_kind:     global_buffer
      - .actual_access:  read_only
        .address_space:  global
        .offset:         32
        .size:           8
        .value_kind:     global_buffer
      - .offset:         40
        .size:           4
        .value_kind:     by_value
      - .offset:         48
        .size:           8
        .value_kind:     by_value
      - .offset:         56
        .size:           8
        .value_kind:     by_value
      - .offset:         64
        .size:           8
        .value_kind:     by_value
      - .offset:         72
        .size:           4
        .value_kind:     by_value
      - .offset:         76
        .size:           4
        .value_kind:     by_value
      - .offset:         80
        .size:           4
        .value_kind:     by_value
      - .offset:         88
        .size:           4
        .value_kind:     hidden_block_count_x
      - .offset:         92
        .size:           4
        .value_kind:     hidden_block_count_y
      - .offset:         96
        .size:           4
        .value_kind:     hidden_block_count_z
      - .offset:         100
        .size:           2
        .value_kind:     hidden_group_size_x
      - .offset:         102
        .size:           2
        .value_kind:     hidden_group_size_y
      - .offset:         104
        .size:           2
        .value_kind:     hidden_group_size_z
      - .offset:         106
        .size:           2
        .value_kind:     hidden_remainder_x
      - .offset:         108
        .size:           2
        .value_kind:     hidden_remainder_y
      - .offset:         110
        .size:           2
        .value_kind:     hidden_remainder_z
      - .offset:         128
        .size:           8
        .value_kind:     hidden_global_offset_x
      - .offset:         136
        .size:           8
        .value_kind:     hidden_global_offset_y
      - .offset:         144
        .size:           8
        .value_kind:     hidden_global_offset_z
      - .offset:         152
        .size:           2
        .value_kind:     hidden_grid_dims
    .group_segment_fixed_size: 0
    .kernarg_segment_align: 8
    .kernarg_segment_size: 344
    .language:       OpenCL C
    .language_version:
      - 2
      - 0
    .max_flat_workgroup_size: 1024
    .name:           _ZN4vllm31batched_rotary_embedding_kernelIfLb0EEEvPKlPT_S4_PKS3_S2_illliii
    .private_segment_fixed_size: 0
    .sgpr_count:     29
    .sgpr_spill_count: 0
    .symbol:         _ZN4vllm31batched_rotary_embedding_kernelIfLb0EEEvPKlPT_S4_PKS3_S2_illliii.kd
    .uniform_work_group_size: 1
    .uses_dynamic_stack: false
    .vgpr_count:     13
    .vgpr_spill_count: 0
    .wavefront_size: 32
    .workgroup_processor_mode: 1
  - .args:
      - .actual_access:  read_only
        .address_space:  global
        .offset:         0
        .size:           8
        .value_kind:     global_buffer
      - .address_space:  global
        .offset:         8
        .size:           8
        .value_kind:     global_buffer
      - .address_space:  global
        .offset:         16
        .size:           8
        .value_kind:     global_buffer
      - .actual_access:  read_only
        .address_space:  global
        .offset:         24
        .size:           8
        .value_kind:     global_buffer
      - .actual_access:  read_only
        .address_space:  global
        .offset:         32
        .size:           8
        .value_kind:     global_buffer
      - .offset:         40
        .size:           4
        .value_kind:     by_value
      - .offset:         48
        .size:           8
        .value_kind:     by_value
      - .offset:         56
        .size:           8
        .value_kind:     by_value
      - .offset:         64
        .size:           8
        .value_kind:     by_value
      - .offset:         72
        .size:           4
        .value_kind:     by_value
      - .offset:         76
        .size:           4
        .value_kind:     by_value
      - .offset:         80
        .size:           4
        .value_kind:     by_value
      - .offset:         88
        .size:           4
        .value_kind:     hidden_block_count_x
      - .offset:         92
        .size:           4
        .value_kind:     hidden_block_count_y
      - .offset:         96
        .size:           4
        .value_kind:     hidden_block_count_z
      - .offset:         100
        .size:           2
        .value_kind:     hidden_group_size_x
      - .offset:         102
        .size:           2
        .value_kind:     hidden_group_size_y
      - .offset:         104
        .size:           2
        .value_kind:     hidden_group_size_z
      - .offset:         106
        .size:           2
        .value_kind:     hidden_remainder_x
      - .offset:         108
        .size:           2
        .value_kind:     hidden_remainder_y
      - .offset:         110
        .size:           2
        .value_kind:     hidden_remainder_z
      - .offset:         128
        .size:           8
        .value_kind:     hidden_global_offset_x
      - .offset:         136
        .size:           8
        .value_kind:     hidden_global_offset_y
      - .offset:         144
        .size:           8
        .value_kind:     hidden_global_offset_z
      - .offset:         152
        .size:           2
        .value_kind:     hidden_grid_dims
    .group_segment_fixed_size: 0
    .kernarg_segment_align: 8
    .kernarg_segment_size: 344
    .language:       OpenCL C
    .language_version:
      - 2
      - 0
    .max_flat_workgroup_size: 1024
    .name:           _ZN4vllm31batched_rotary_embedding_kernelIN3c104HalfELb1EEEvPKlPT_S6_PKS5_S4_illliii
    .private_segment_fixed_size: 0
    .sgpr_count:     29
    .sgpr_spill_count: 0
    .symbol:         _ZN4vllm31batched_rotary_embedding_kernelIN3c104HalfELb1EEEvPKlPT_S6_PKS5_S4_illliii.kd
    .uniform_work_group_size: 1
    .uses_dynamic_stack: false
    .vgpr_count:     12
    .vgpr_spill_count: 0
    .wavefront_size: 32
    .workgroup_processor_mode: 1
  - .args:
      - .actual_access:  read_only
        .address_space:  global
        .offset:         0
        .size:           8
        .value_kind:     global_buffer
      - .address_space:  global
        .offset:         8
        .size:           8
        .value_kind:     global_buffer
      - .address_space:  global
        .offset:         16
        .size:           8
        .value_kind:     global_buffer
      - .actual_access:  read_only
        .address_space:  global
        .offset:         24
        .size:           8
        .value_kind:     global_buffer
      - .actual_access:  read_only
        .address_space:  global
        .offset:         32
        .size:           8
        .value_kind:     global_buffer
      - .offset:         40
        .size:           4
        .value_kind:     by_value
      - .offset:         48
        .size:           8
        .value_kind:     by_value
      - .offset:         56
        .size:           8
        .value_kind:     by_value
      - .offset:         64
        .size:           8
        .value_kind:     by_value
      - .offset:         72
        .size:           4
        .value_kind:     by_value
      - .offset:         76
        .size:           4
        .value_kind:     by_value
      - .offset:         80
        .size:           4
        .value_kind:     by_value
      - .offset:         88
        .size:           4
        .value_kind:     hidden_block_count_x
      - .offset:         92
        .size:           4
        .value_kind:     hidden_block_count_y
      - .offset:         96
        .size:           4
        .value_kind:     hidden_block_count_z
      - .offset:         100
        .size:           2
        .value_kind:     hidden_group_size_x
      - .offset:         102
        .size:           2
        .value_kind:     hidden_group_size_y
      - .offset:         104
        .size:           2
        .value_kind:     hidden_group_size_z
      - .offset:         106
        .size:           2
        .value_kind:     hidden_remainder_x
      - .offset:         108
        .size:           2
        .value_kind:     hidden_remainder_y
      - .offset:         110
        .size:           2
        .value_kind:     hidden_remainder_z
      - .offset:         128
        .size:           8
        .value_kind:     hidden_global_offset_x
      - .offset:         136
        .size:           8
        .value_kind:     hidden_global_offset_y
      - .offset:         144
        .size:           8
        .value_kind:     hidden_global_offset_z
      - .offset:         152
        .size:           2
        .value_kind:     hidden_grid_dims
    .group_segment_fixed_size: 0
    .kernarg_segment_align: 8
    .kernarg_segment_size: 344
    .language:       OpenCL C
    .language_version:
      - 2
      - 0
    .max_flat_workgroup_size: 1024
    .name:           _ZN4vllm31batched_rotary_embedding_kernelIN3c104HalfELb0EEEvPKlPT_S6_PKS5_S4_illliii
    .private_segment_fixed_size: 0
    .sgpr_count:     29
    .sgpr_spill_count: 0
    .symbol:         _ZN4vllm31batched_rotary_embedding_kernelIN3c104HalfELb0EEEvPKlPT_S6_PKS5_S4_illliii.kd
    .uniform_work_group_size: 1
    .uses_dynamic_stack: false
    .vgpr_count:     13
    .vgpr_spill_count: 0
    .wavefront_size: 32
    .workgroup_processor_mode: 1
  - .args:
      - .actual_access:  read_only
        .address_space:  global
        .offset:         0
        .size:           8
        .value_kind:     global_buffer
      - .address_space:  global
        .offset:         8
        .size:           8
        .value_kind:     global_buffer
      - .address_space:  global
        .offset:         16
        .size:           8
        .value_kind:     global_buffer
      - .actual_access:  read_only
        .address_space:  global
        .offset:         24
        .size:           8
        .value_kind:     global_buffer
      - .actual_access:  read_only
        .address_space:  global
        .offset:         32
        .size:           8
        .value_kind:     global_buffer
      - .offset:         40
        .size:           4
        .value_kind:     by_value
      - .offset:         48
        .size:           8
        .value_kind:     by_value
      - .offset:         56
        .size:           8
        .value_kind:     by_value
      - .offset:         64
        .size:           8
        .value_kind:     by_value
      - .offset:         72
        .size:           4
        .value_kind:     by_value
      - .offset:         76
        .size:           4
        .value_kind:     by_value
      - .offset:         80
        .size:           4
        .value_kind:     by_value
      - .offset:         88
        .size:           4
        .value_kind:     hidden_block_count_x
      - .offset:         92
        .size:           4
        .value_kind:     hidden_block_count_y
      - .offset:         96
        .size:           4
        .value_kind:     hidden_block_count_z
      - .offset:         100
        .size:           2
        .value_kind:     hidden_group_size_x
      - .offset:         102
        .size:           2
        .value_kind:     hidden_group_size_y
      - .offset:         104
        .size:           2
        .value_kind:     hidden_group_size_z
      - .offset:         106
        .size:           2
        .value_kind:     hidden_remainder_x
      - .offset:         108
        .size:           2
        .value_kind:     hidden_remainder_y
      - .offset:         110
        .size:           2
        .value_kind:     hidden_remainder_z
      - .offset:         128
        .size:           8
        .value_kind:     hidden_global_offset_x
      - .offset:         136
        .size:           8
        .value_kind:     hidden_global_offset_y
      - .offset:         144
        .size:           8
        .value_kind:     hidden_global_offset_z
      - .offset:         152
        .size:           2
        .value_kind:     hidden_grid_dims
    .group_segment_fixed_size: 0
    .kernarg_segment_align: 8
    .kernarg_segment_size: 344
    .language:       OpenCL C
    .language_version:
      - 2
      - 0
    .max_flat_workgroup_size: 1024
    .name:           _ZN4vllm31batched_rotary_embedding_kernelIN3c108BFloat16ELb1EEEvPKlPT_S6_PKS5_S4_illliii
    .private_segment_fixed_size: 0
    .sgpr_count:     31
    .sgpr_spill_count: 0
    .symbol:         _ZN4vllm31batched_rotary_embedding_kernelIN3c108BFloat16ELb1EEEvPKlPT_S6_PKS5_S4_illliii.kd
    .uniform_work_group_size: 1
    .uses_dynamic_stack: false
    .vgpr_count:     15
    .vgpr_spill_count: 0
    .wavefront_size: 32
    .workgroup_processor_mode: 1
  - .args:
      - .actual_access:  read_only
        .address_space:  global
        .offset:         0
        .size:           8
        .value_kind:     global_buffer
      - .address_space:  global
        .offset:         8
        .size:           8
        .value_kind:     global_buffer
      - .address_space:  global
        .offset:         16
        .size:           8
        .value_kind:     global_buffer
      - .actual_access:  read_only
        .address_space:  global
        .offset:         24
        .size:           8
        .value_kind:     global_buffer
      - .actual_access:  read_only
        .address_space:  global
        .offset:         32
        .size:           8
        .value_kind:     global_buffer
      - .offset:         40
        .size:           4
        .value_kind:     by_value
      - .offset:         48
        .size:           8
        .value_kind:     by_value
      - .offset:         56
        .size:           8
        .value_kind:     by_value
      - .offset:         64
        .size:           8
        .value_kind:     by_value
      - .offset:         72
        .size:           4
        .value_kind:     by_value
      - .offset:         76
        .size:           4
        .value_kind:     by_value
      - .offset:         80
        .size:           4
        .value_kind:     by_value
      - .offset:         88
        .size:           4
        .value_kind:     hidden_block_count_x
      - .offset:         92
        .size:           4
        .value_kind:     hidden_block_count_y
      - .offset:         96
        .size:           4
        .value_kind:     hidden_block_count_z
      - .offset:         100
        .size:           2
        .value_kind:     hidden_group_size_x
      - .offset:         102
        .size:           2
        .value_kind:     hidden_group_size_y
      - .offset:         104
        .size:           2
        .value_kind:     hidden_group_size_z
      - .offset:         106
        .size:           2
        .value_kind:     hidden_remainder_x
      - .offset:         108
        .size:           2
        .value_kind:     hidden_remainder_y
      - .offset:         110
        .size:           2
        .value_kind:     hidden_remainder_z
      - .offset:         128
        .size:           8
        .value_kind:     hidden_global_offset_x
      - .offset:         136
        .size:           8
        .value_kind:     hidden_global_offset_y
      - .offset:         144
        .size:           8
        .value_kind:     hidden_global_offset_z
      - .offset:         152
        .size:           2
        .value_kind:     hidden_grid_dims
    .group_segment_fixed_size: 0
    .kernarg_segment_align: 8
    .kernarg_segment_size: 344
    .language:       OpenCL C
    .language_version:
      - 2
      - 0
    .max_flat_workgroup_size: 1024
    .name:           _ZN4vllm31batched_rotary_embedding_kernelIN3c108BFloat16ELb0EEEvPKlPT_S6_PKS5_S4_illliii
    .private_segment_fixed_size: 0
    .sgpr_count:     32
    .sgpr_spill_count: 0
    .symbol:         _ZN4vllm31batched_rotary_embedding_kernelIN3c108BFloat16ELb0EEEvPKlPT_S6_PKS5_S4_illliii.kd
    .uniform_work_group_size: 1
    .uses_dynamic_stack: false
    .vgpr_count:     14
    .vgpr_spill_count: 0
    .wavefront_size: 32
    .workgroup_processor_mode: 1
amdhsa.target:   amdgcn-amd-amdhsa--gfx1100
amdhsa.version:
  - 1
  - 2
...

	.end_amdgpu_metadata
